;; amdgpu-corpus repo=ROCm/rocFFT kind=compiled arch=gfx906 opt=O3
	.text
	.amdgcn_target "amdgcn-amd-amdhsa--gfx906"
	.amdhsa_code_object_version 6
	.protected	fft_rtc_fwd_len1188_factors_6_11_2_3_3_wgs_198_tpt_66_halfLds_sp_op_CI_CI_unitstride_sbrr_dirReg ; -- Begin function fft_rtc_fwd_len1188_factors_6_11_2_3_3_wgs_198_tpt_66_halfLds_sp_op_CI_CI_unitstride_sbrr_dirReg
	.globl	fft_rtc_fwd_len1188_factors_6_11_2_3_3_wgs_198_tpt_66_halfLds_sp_op_CI_CI_unitstride_sbrr_dirReg
	.p2align	8
	.type	fft_rtc_fwd_len1188_factors_6_11_2_3_3_wgs_198_tpt_66_halfLds_sp_op_CI_CI_unitstride_sbrr_dirReg,@function
fft_rtc_fwd_len1188_factors_6_11_2_3_3_wgs_198_tpt_66_halfLds_sp_op_CI_CI_unitstride_sbrr_dirReg: ; @fft_rtc_fwd_len1188_factors_6_11_2_3_3_wgs_198_tpt_66_halfLds_sp_op_CI_CI_unitstride_sbrr_dirReg
; %bb.0:
	s_load_dwordx4 s[8:11], s[4:5], 0x58
	s_load_dwordx4 s[12:15], s[4:5], 0x0
	;; [unrolled: 1-line block ×3, first 2 shown]
	v_mul_u32_u24_e32 v1, 0x3e1, v0
	v_lshrrev_b32_e32 v1, 16, v1
	v_mad_u64_u32 v[1:2], s[0:1], s6, 3, v[1:2]
	v_mov_b32_e32 v5, 0
	v_mov_b32_e32 v3, 0
	;; [unrolled: 1-line block ×3, first 2 shown]
	s_waitcnt lgkmcnt(0)
	v_cmp_lt_u64_e64 s[0:1], s[14:15], 2
	v_mov_b32_e32 v4, 0
	v_mov_b32_e32 v9, v4
	;; [unrolled: 1-line block ×3, first 2 shown]
	s_and_b64 vcc, exec, s[0:1]
	v_mov_b32_e32 v8, v3
	v_mov_b32_e32 v12, v1
	s_cbranch_vccnz .LBB0_8
; %bb.1:
	s_load_dwordx2 s[0:1], s[4:5], 0x10
	s_add_u32 s2, s18, 8
	s_addc_u32 s3, s19, 0
	s_add_u32 s6, s16, 8
	v_mov_b32_e32 v3, 0
	s_addc_u32 s7, s17, 0
	v_mov_b32_e32 v4, 0
	s_waitcnt lgkmcnt(0)
	s_add_u32 s20, s0, 8
	v_mov_b32_e32 v9, v4
	v_mov_b32_e32 v11, v2
	s_addc_u32 s21, s1, 0
	s_mov_b64 s[22:23], 1
	v_mov_b32_e32 v8, v3
	v_mov_b32_e32 v10, v1
.LBB0_2:                                ; =>This Inner Loop Header: Depth=1
	s_load_dwordx2 s[24:25], s[20:21], 0x0
                                        ; implicit-def: $vgpr12_vgpr13
	s_waitcnt lgkmcnt(0)
	v_or_b32_e32 v6, s25, v11
	v_cmp_ne_u64_e32 vcc, 0, v[5:6]
	s_and_saveexec_b64 s[0:1], vcc
	s_xor_b64 s[26:27], exec, s[0:1]
	s_cbranch_execz .LBB0_4
; %bb.3:                                ;   in Loop: Header=BB0_2 Depth=1
	v_cvt_f32_u32_e32 v2, s24
	v_cvt_f32_u32_e32 v6, s25
	s_sub_u32 s0, 0, s24
	s_subb_u32 s1, 0, s25
	v_mac_f32_e32 v2, 0x4f800000, v6
	v_rcp_f32_e32 v2, v2
	v_mul_f32_e32 v2, 0x5f7ffffc, v2
	v_mul_f32_e32 v6, 0x2f800000, v2
	v_trunc_f32_e32 v6, v6
	v_mac_f32_e32 v2, 0xcf800000, v6
	v_cvt_u32_f32_e32 v6, v6
	v_cvt_u32_f32_e32 v2, v2
	v_mul_lo_u32 v7, s0, v6
	v_mul_hi_u32 v12, s0, v2
	v_mul_lo_u32 v14, s1, v2
	v_mul_lo_u32 v13, s0, v2
	v_add_u32_e32 v7, v12, v7
	v_add_u32_e32 v7, v7, v14
	v_mul_hi_u32 v12, v2, v13
	v_mul_lo_u32 v14, v2, v7
	v_mul_hi_u32 v16, v2, v7
	v_mul_hi_u32 v15, v6, v13
	v_mul_lo_u32 v13, v6, v13
	v_mul_hi_u32 v17, v6, v7
	v_add_co_u32_e32 v12, vcc, v12, v14
	v_addc_co_u32_e32 v14, vcc, 0, v16, vcc
	v_mul_lo_u32 v7, v6, v7
	v_add_co_u32_e32 v12, vcc, v12, v13
	v_addc_co_u32_e32 v12, vcc, v14, v15, vcc
	v_addc_co_u32_e32 v13, vcc, 0, v17, vcc
	v_add_co_u32_e32 v7, vcc, v12, v7
	v_addc_co_u32_e32 v12, vcc, 0, v13, vcc
	v_add_co_u32_e32 v2, vcc, v2, v7
	v_addc_co_u32_e32 v6, vcc, v6, v12, vcc
	v_mul_lo_u32 v7, s0, v6
	v_mul_hi_u32 v12, s0, v2
	v_mul_lo_u32 v13, s1, v2
	v_mul_lo_u32 v14, s0, v2
	v_add_u32_e32 v7, v12, v7
	v_add_u32_e32 v7, v7, v13
	v_mul_lo_u32 v15, v2, v7
	v_mul_hi_u32 v16, v2, v14
	v_mul_hi_u32 v17, v2, v7
	;; [unrolled: 1-line block ×3, first 2 shown]
	v_mul_lo_u32 v14, v6, v14
	v_mul_hi_u32 v12, v6, v7
	v_add_co_u32_e32 v15, vcc, v16, v15
	v_addc_co_u32_e32 v16, vcc, 0, v17, vcc
	v_mul_lo_u32 v7, v6, v7
	v_add_co_u32_e32 v14, vcc, v15, v14
	v_addc_co_u32_e32 v13, vcc, v16, v13, vcc
	v_addc_co_u32_e32 v12, vcc, 0, v12, vcc
	v_add_co_u32_e32 v7, vcc, v13, v7
	v_addc_co_u32_e32 v12, vcc, 0, v12, vcc
	v_add_co_u32_e32 v2, vcc, v2, v7
	v_addc_co_u32_e32 v12, vcc, v6, v12, vcc
	v_mad_u64_u32 v[6:7], s[0:1], v10, v12, 0
	v_mul_hi_u32 v13, v10, v2
	v_add_co_u32_e32 v14, vcc, v13, v6
	v_addc_co_u32_e32 v15, vcc, 0, v7, vcc
	v_mad_u64_u32 v[6:7], s[0:1], v11, v2, 0
	v_mad_u64_u32 v[12:13], s[0:1], v11, v12, 0
	v_add_co_u32_e32 v2, vcc, v14, v6
	v_addc_co_u32_e32 v2, vcc, v15, v7, vcc
	v_addc_co_u32_e32 v6, vcc, 0, v13, vcc
	v_add_co_u32_e32 v2, vcc, v2, v12
	v_addc_co_u32_e32 v12, vcc, 0, v6, vcc
	v_mul_lo_u32 v13, s25, v2
	v_mul_lo_u32 v14, s24, v12
	v_mad_u64_u32 v[6:7], s[0:1], s24, v2, 0
	v_add3_u32 v7, v7, v14, v13
	v_sub_u32_e32 v13, v11, v7
	v_mov_b32_e32 v14, s25
	v_sub_co_u32_e32 v6, vcc, v10, v6
	v_subb_co_u32_e64 v13, s[0:1], v13, v14, vcc
	v_subrev_co_u32_e64 v14, s[0:1], s24, v6
	v_subbrev_co_u32_e64 v13, s[0:1], 0, v13, s[0:1]
	v_cmp_le_u32_e64 s[0:1], s25, v13
	v_cndmask_b32_e64 v15, 0, -1, s[0:1]
	v_cmp_le_u32_e64 s[0:1], s24, v14
	v_cndmask_b32_e64 v14, 0, -1, s[0:1]
	v_cmp_eq_u32_e64 s[0:1], s25, v13
	v_cndmask_b32_e64 v13, v15, v14, s[0:1]
	v_add_co_u32_e64 v14, s[0:1], 2, v2
	v_addc_co_u32_e64 v15, s[0:1], 0, v12, s[0:1]
	v_add_co_u32_e64 v16, s[0:1], 1, v2
	v_addc_co_u32_e64 v17, s[0:1], 0, v12, s[0:1]
	v_subb_co_u32_e32 v7, vcc, v11, v7, vcc
	v_cmp_ne_u32_e64 s[0:1], 0, v13
	v_cmp_le_u32_e32 vcc, s25, v7
	v_cndmask_b32_e64 v13, v17, v15, s[0:1]
	v_cndmask_b32_e64 v15, 0, -1, vcc
	v_cmp_le_u32_e32 vcc, s24, v6
	v_cndmask_b32_e64 v6, 0, -1, vcc
	v_cmp_eq_u32_e32 vcc, s25, v7
	v_cndmask_b32_e32 v6, v15, v6, vcc
	v_cmp_ne_u32_e32 vcc, 0, v6
	v_cndmask_b32_e64 v6, v16, v14, s[0:1]
	v_cndmask_b32_e32 v13, v12, v13, vcc
	v_cndmask_b32_e32 v12, v2, v6, vcc
.LBB0_4:                                ;   in Loop: Header=BB0_2 Depth=1
	s_andn2_saveexec_b64 s[0:1], s[26:27]
	s_cbranch_execz .LBB0_6
; %bb.5:                                ;   in Loop: Header=BB0_2 Depth=1
	v_cvt_f32_u32_e32 v2, s24
	s_sub_i32 s26, 0, s24
	v_mov_b32_e32 v13, v5
	v_rcp_iflag_f32_e32 v2, v2
	v_mul_f32_e32 v2, 0x4f7ffffe, v2
	v_cvt_u32_f32_e32 v2, v2
	v_mul_lo_u32 v6, s26, v2
	v_mul_hi_u32 v6, v2, v6
	v_add_u32_e32 v2, v2, v6
	v_mul_hi_u32 v2, v10, v2
	v_mul_lo_u32 v6, v2, s24
	v_add_u32_e32 v7, 1, v2
	v_sub_u32_e32 v6, v10, v6
	v_subrev_u32_e32 v12, s24, v6
	v_cmp_le_u32_e32 vcc, s24, v6
	v_cndmask_b32_e32 v6, v6, v12, vcc
	v_cndmask_b32_e32 v2, v2, v7, vcc
	v_add_u32_e32 v7, 1, v2
	v_cmp_le_u32_e32 vcc, s24, v6
	v_cndmask_b32_e32 v12, v2, v7, vcc
.LBB0_6:                                ;   in Loop: Header=BB0_2 Depth=1
	s_or_b64 exec, exec, s[0:1]
	v_mul_lo_u32 v2, v13, s24
	v_mul_lo_u32 v14, v12, s25
	v_mad_u64_u32 v[6:7], s[0:1], v12, s24, 0
	s_load_dwordx2 s[0:1], s[6:7], 0x0
	s_load_dwordx2 s[24:25], s[2:3], 0x0
	v_add3_u32 v2, v7, v14, v2
	v_sub_co_u32_e32 v6, vcc, v10, v6
	v_subb_co_u32_e32 v2, vcc, v11, v2, vcc
	s_waitcnt lgkmcnt(0)
	v_mul_lo_u32 v7, s0, v2
	v_mul_lo_u32 v10, s1, v6
	v_mad_u64_u32 v[3:4], s[0:1], s0, v6, v[3:4]
	s_add_u32 s22, s22, 1
	s_addc_u32 s23, s23, 0
	s_add_u32 s2, s2, 8
	v_mul_lo_u32 v2, s24, v2
	v_mul_lo_u32 v11, s25, v6
	v_mad_u64_u32 v[8:9], s[0:1], s24, v6, v[8:9]
	v_add3_u32 v4, v10, v4, v7
	s_addc_u32 s3, s3, 0
	v_mov_b32_e32 v6, s14
	s_add_u32 s6, s6, 8
	v_mov_b32_e32 v7, s15
	s_addc_u32 s7, s7, 0
	v_cmp_ge_u64_e32 vcc, s[22:23], v[6:7]
	s_add_u32 s20, s20, 8
	v_add3_u32 v9, v11, v9, v2
	s_addc_u32 s21, s21, 0
	s_cbranch_vccnz .LBB0_8
; %bb.7:                                ;   in Loop: Header=BB0_2 Depth=1
	v_mov_b32_e32 v10, v12
	v_mov_b32_e32 v11, v13
	s_branch .LBB0_2
.LBB0_8:
	s_load_dwordx2 s[0:1], s[4:5], 0x28
	s_lshl_b64 s[6:7], s[14:15], 3
	s_add_u32 s2, s18, s6
	s_addc_u32 s3, s19, s7
                                        ; implicit-def: $vgpr10
	s_waitcnt lgkmcnt(0)
	v_cmp_gt_u64_e32 vcc, s[0:1], v[12:13]
	v_cmp_le_u64_e64 s[0:1], s[0:1], v[12:13]
	s_and_saveexec_b64 s[4:5], s[0:1]
	s_xor_b64 s[0:1], exec, s[4:5]
; %bb.9:
	s_mov_b32 s4, 0x3e0f83f
	v_mul_hi_u32 v2, v0, s4
                                        ; implicit-def: $vgpr3_vgpr4
	v_mul_u32_u24_e32 v2, 0x42, v2
	v_sub_u32_e32 v10, v0, v2
                                        ; implicit-def: $vgpr0
; %bb.10:
	s_or_saveexec_b64 s[4:5], s[0:1]
                                        ; implicit-def: $vgpr7
                                        ; implicit-def: $vgpr27
                                        ; implicit-def: $vgpr43
                                        ; implicit-def: $vgpr49
                                        ; implicit-def: $vgpr47
                                        ; implicit-def: $vgpr51
                                        ; implicit-def: $vgpr5
                                        ; implicit-def: $vgpr31
                                        ; implicit-def: $vgpr37
                                        ; implicit-def: $vgpr39
                                        ; implicit-def: $vgpr64
                                        ; implicit-def: $vgpr19
                                        ; implicit-def: $vgpr21
                                        ; implicit-def: $vgpr29
                                        ; implicit-def: $vgpr25
                                        ; implicit-def: $vgpr35
                                        ; implicit-def: $vgpr33
                                        ; implicit-def: $vgpr41
                                        ; implicit-def: $vgpr23
	s_xor_b64 exec, exec, s[4:5]
	s_cbranch_execz .LBB0_12
; %bb.11:
	s_add_u32 s0, s16, s6
	s_addc_u32 s1, s17, s7
	s_load_dwordx2 s[0:1], s[0:1], 0x0
	s_mov_b32 s6, 0x3e0f83f
	v_mul_hi_u32 v2, v0, s6
	s_waitcnt lgkmcnt(0)
	v_mul_lo_u32 v7, s1, v12
	v_mul_lo_u32 v11, s0, v13
	v_mad_u64_u32 v[5:6], s[0:1], s0, v12, 0
	v_mul_u32_u24_e32 v2, 0x42, v2
	v_sub_u32_e32 v10, v0, v2
	v_add3_u32 v6, v6, v11, v7
	v_lshlrev_b64 v[5:6], 3, v[5:6]
	v_mov_b32_e32 v0, s9
	v_add_co_u32_e64 v5, s[0:1], s8, v5
	v_lshlrev_b64 v[2:3], 3, v[3:4]
	v_addc_co_u32_e64 v0, s[0:1], v0, v6, s[0:1]
	v_add_co_u32_e64 v2, s[0:1], v5, v2
	v_addc_co_u32_e64 v0, s[0:1], v0, v3, s[0:1]
	v_lshlrev_b32_e32 v3, 3, v10
	v_add_co_u32_e64 v2, s[0:1], v2, v3
	v_addc_co_u32_e64 v3, s[0:1], 0, v0, s[0:1]
	s_movk_i32 s0, 0x1000
	v_add_co_u32_e64 v14, s[0:1], s0, v2
	v_addc_co_u32_e64 v15, s[0:1], 0, v3, s[0:1]
	s_movk_i32 s0, 0x2000
	v_add_co_u32_e64 v16, s[0:1], s0, v2
	global_load_dwordx2 v[6:7], v[2:3], off
	global_load_dwordx2 v[4:5], v[2:3], off offset:528
	global_load_dwordx2 v[22:23], v[2:3], off offset:2112
	v_addc_co_u32_e64 v17, s[0:1], 0, v3, s[0:1]
	global_load_dwordx2 v[26:27], v[2:3], off offset:1584
	global_load_dwordx2 v[18:19], v[2:3], off offset:1056
	;; [unrolled: 1-line block ×15, first 2 shown]
	v_mov_b32_e32 v64, v10
.LBB0_12:
	s_or_b64 exec, exec, s[4:5]
	s_mov_b32 s0, 0xaaaaaaab
	v_mul_hi_u32 v0, v1, s0
	s_waitcnt vmcnt(9)
	v_add_f32_e32 v3, v42, v46
	v_add_f32_e32 v2, v6, v42
	v_fmac_f32_e32 v6, -0.5, v3
	v_lshrrev_b32_e32 v0, 1, v0
	v_lshl_add_u32 v0, v0, 1, v0
	v_sub_u32_e32 v0, v1, v0
	v_sub_f32_e32 v1, v43, v47
	v_mov_b32_e32 v15, v6
	s_waitcnt vmcnt(3)
	v_add_f32_e32 v3, v48, v50
	v_fmac_f32_e32 v15, 0x3f5db3d7, v1
	v_fmac_f32_e32 v6, 0xbf5db3d7, v1
	v_add_f32_e32 v1, v26, v48
	v_fmac_f32_e32 v26, -0.5, v3
	v_sub_f32_e32 v3, v49, v51
	v_mov_b32_e32 v11, v26
	v_fmac_f32_e32 v11, 0x3f5db3d7, v3
	v_fmac_f32_e32 v26, 0xbf5db3d7, v3
	v_add_f32_e32 v3, v49, v51
	v_fma_f32 v14, -0.5, v3, v27
	v_sub_f32_e32 v3, v48, v50
	v_mov_b32_e32 v65, v14
	v_mul_u32_u24_e32 v16, 0x4a4, v0
	v_fmac_f32_e32 v65, 0xbf5db3d7, v3
	v_fmac_f32_e32 v14, 0x3f5db3d7, v3
	v_mul_f32_e32 v17, 0.5, v11
	v_mul_f32_e32 v44, -0.5, v26
	v_lshlrev_b32_e32 v48, 2, v16
	v_add_f32_e32 v2, v2, v46
	v_add_f32_e32 v3, v1, v50
	v_fmac_f32_e32 v17, 0x3f5db3d7, v65
	v_fmac_f32_e32 v44, 0x3f5db3d7, v14
	v_mul_u32_u24_e32 v16, 6, v10
	v_add_u32_e32 v52, 0, v48
	v_add_f32_e32 v0, v2, v3
	v_add_f32_e32 v1, v15, v17
	v_sub_f32_e32 v3, v2, v3
	v_add_f32_e32 v2, v6, v44
	v_lshl_add_u32 v50, v16, 2, v52
	ds_write2_b64 v50, v[0:1], v[2:3] offset1:1
	v_add_f32_e32 v1, v30, v36
	v_add_f32_e32 v0, v4, v30
	v_fmac_f32_e32 v4, -0.5, v1
	v_sub_f32_e32 v1, v31, v37
	v_mov_b32_e32 v16, v4
	s_waitcnt vmcnt(1)
	v_add_f32_e32 v2, v38, v40
	v_fmac_f32_e32 v16, 0x3f5db3d7, v1
	v_fmac_f32_e32 v4, 0xbf5db3d7, v1
	v_add_f32_e32 v1, v40, v22
	v_fmac_f32_e32 v22, -0.5, v2
	v_sub_f32_e32 v2, v41, v39
	v_mov_b32_e32 v66, v22
	v_fmac_f32_e32 v66, 0x3f5db3d7, v2
	v_fmac_f32_e32 v22, 0xbf5db3d7, v2
	v_add_f32_e32 v2, v39, v41
	v_fma_f32 v67, -0.5, v2, v23
	v_sub_f32_e32 v2, v40, v38
	v_mov_b32_e32 v70, v67
	v_fmac_f32_e32 v70, 0xbf5db3d7, v2
	v_fmac_f32_e32 v67, 0x3f5db3d7, v2
	v_add_f32_e32 v3, v38, v1
	v_mul_f32_e32 v38, 0.5, v66
	v_mul_f32_e32 v40, -0.5, v22
	v_add_f32_e32 v2, v0, v36
	v_fmac_f32_e32 v38, 0x3f5db3d7, v70
	v_fmac_f32_e32 v40, 0x3f5db3d7, v67
	v_add_f32_e32 v0, v2, v3
	v_add_f32_e32 v1, v16, v38
	v_sub_f32_e32 v3, v2, v3
	v_add_f32_e32 v2, v4, v40
	ds_write2_b64 v50, v[0:1], v[2:3] offset0:198 offset1:199
	v_add_f32_e32 v0, v18, v28
	v_add_f32_e32 v1, v0, v34
	;; [unrolled: 1-line block ×3, first 2 shown]
	s_waitcnt vmcnt(0)
	v_add_f32_e32 v2, v0, v32
	v_add_f32_e32 v0, v1, v2
	v_sub_f32_e32 v3, v1, v2
	v_sub_f32_e32 v1, v15, v17
	;; [unrolled: 1-line block ×5, first 2 shown]
	ds_write2_b64 v50, v[1:2], v[15:16] offset0:2 offset1:200
	v_add_f32_e32 v1, v28, v34
	v_fmac_f32_e32 v18, -0.5, v1
	v_sub_f32_e32 v1, v29, v35
	v_mov_b32_e32 v4, v18
	v_fmac_f32_e32 v4, 0x3f5db3d7, v1
	v_fmac_f32_e32 v18, 0xbf5db3d7, v1
	v_add_f32_e32 v1, v24, v32
	v_fmac_f32_e32 v20, -0.5, v1
	v_sub_f32_e32 v1, v25, v33
	v_mov_b32_e32 v6, v20
	v_fmac_f32_e32 v6, 0x3f5db3d7, v1
	v_fmac_f32_e32 v20, 0xbf5db3d7, v1
	v_add_f32_e32 v1, v25, v33
	v_fma_f32 v71, -0.5, v1, v21
	v_sub_f32_e32 v1, v24, v32
	v_mov_b32_e32 v32, v71
	v_fmac_f32_e32 v32, 0xbf5db3d7, v1
	v_mul_f32_e32 v15, 0.5, v6
	v_fmac_f32_e32 v15, 0x3f5db3d7, v32
	v_fmac_f32_e32 v71, 0x3f5db3d7, v1
	v_add_f32_e32 v1, v4, v15
	v_mul_f32_e32 v17, -0.5, v20
	v_sub_f32_e32 v44, v4, v15
	v_lshlrev_b32_e32 v4, 2, v10
	v_fmac_f32_e32 v17, 0x3f5db3d7, v71
	v_add_u32_e32 v40, v52, v4
	v_add_u32_e32 v4, 0, v4
	v_add_f32_e32 v2, v18, v17
	v_add_u32_e32 v24, 0xc60, v50
	v_add_u32_e32 v38, v4, v48
	v_sub_f32_e32 v45, v18, v17
	s_load_dwordx2 s[2:3], s[2:3], 0x0
	ds_write2_b64 v24, v[0:1], v[2:3] offset1:1
	ds_write_b64 v50, v[44:45] offset:3184
	s_waitcnt lgkmcnt(0)
	s_barrier
	ds_read_b32 v68, v40
	v_add_u32_e32 v72, 0x400, v38
	v_add_u32_e32 v73, 0x800, v38
	;; [unrolled: 1-line block ×4, first 2 shown]
	ds_read2_b32 v[62:63], v38 offset0:108 offset1:216
	ds_read2_b32 v[60:61], v72 offset0:68 offset1:176
	;; [unrolled: 1-line block ×5, first 2 shown]
	v_cmp_gt_u32_e64 s[0:1], 42, v10
	v_add_u32_e32 v76, 0x630, v50
                                        ; implicit-def: $vgpr69
                                        ; implicit-def: $vgpr18
                                        ; implicit-def: $vgpr53
	s_and_saveexec_b64 s[4:5], s[0:1]
	s_cbranch_execz .LBB0_14
; %bb.13:
	ds_read2_b32 v[3:4], v38 offset0:66 offset1:174
	ds_read2_b32 v[1:2], v72 offset0:26 offset1:134
	v_add_u32_e32 v0, 0x600, v38
	ds_read2_b32 v[44:45], v0 offset0:114 offset1:222
	ds_read2_b32 v[52:53], v74 offset0:74 offset1:182
	;; [unrolled: 1-line block ×3, first 2 shown]
	ds_read_b32 v69, v38 offset:4584
	s_waitcnt lgkmcnt(5)
	v_mov_b32_e32 v16, v3
	v_mov_b32_e32 v0, v4
	s_waitcnt lgkmcnt(3)
	v_mov_b32_e32 v3, v44
	v_mov_b32_e32 v44, v45
	s_waitcnt lgkmcnt(2)
	v_mov_b32_e32 v45, v52
.LBB0_14:
	s_or_b64 exec, exec, s[4:5]
	v_add_f32_e32 v15, v43, v47
	v_add_f32_e32 v4, v7, v43
	v_fmac_f32_e32 v7, -0.5, v15
	v_sub_f32_e32 v15, v42, v46
	v_mov_b32_e32 v46, v7
	v_mul_f32_e32 v14, -0.5, v14
	v_fmac_f32_e32 v46, 0xbf5db3d7, v15
	v_fmac_f32_e32 v7, 0x3f5db3d7, v15
	v_add_f32_e32 v15, v27, v49
	v_fmac_f32_e32 v14, 0xbf5db3d7, v26
	v_add_f32_e32 v4, v4, v47
	v_add_f32_e32 v15, v15, v51
	v_mul_f32_e32 v11, 0xbf5db3d7, v11
	v_add_f32_e32 v26, v7, v14
	v_sub_f32_e32 v47, v7, v14
	v_add_f32_e32 v7, v31, v37
	v_add_f32_e32 v42, v4, v15
	v_fmac_f32_e32 v11, 0.5, v65
	v_sub_f32_e32 v27, v4, v15
	v_add_f32_e32 v4, v5, v31
	v_fmac_f32_e32 v5, -0.5, v7
	v_add_f32_e32 v43, v46, v11
	v_sub_f32_e32 v46, v46, v11
	v_sub_f32_e32 v7, v30, v36
	v_mov_b32_e32 v11, v5
	v_fmac_f32_e32 v11, 0xbf5db3d7, v7
	v_fmac_f32_e32 v5, 0x3f5db3d7, v7
	v_add_f32_e32 v7, v41, v23
	v_add_f32_e32 v4, v4, v37
	;; [unrolled: 1-line block ×4, first 2 shown]
	v_sub_f32_e32 v37, v4, v7
	v_add_f32_e32 v4, v19, v29
	v_mul_f32_e32 v14, 0xbf5db3d7, v66
	v_add_f32_e32 v7, v4, v35
	v_add_f32_e32 v4, v29, v35
	v_fmac_f32_e32 v14, 0.5, v70
	v_fmac_f32_e32 v19, -0.5, v4
	v_add_f32_e32 v31, v11, v14
	v_mul_f32_e32 v15, -0.5, v67
	v_sub_f32_e32 v14, v11, v14
	v_sub_f32_e32 v4, v28, v34
	v_mov_b32_e32 v11, v19
	v_fmac_f32_e32 v15, 0xbf5db3d7, v22
	v_fmac_f32_e32 v11, 0xbf5db3d7, v4
	;; [unrolled: 1-line block ×3, first 2 shown]
	v_add_f32_e32 v4, v21, v25
	v_mul_f32_e32 v22, 0xbf5db3d7, v6
	v_mul_f32_e32 v23, -0.5, v71
	v_add_f32_e32 v21, v4, v33
	v_fmac_f32_e32 v22, 0.5, v32
	v_fmac_f32_e32 v23, 0xbf5db3d7, v20
	v_add_f32_e32 v36, v5, v15
	v_sub_f32_e32 v15, v5, v15
	v_add_f32_e32 v4, v7, v21
	v_add_f32_e32 v5, v11, v22
	;; [unrolled: 1-line block ×3, first 2 shown]
	v_sub_f32_e32 v7, v7, v21
	v_sub_f32_e32 v21, v11, v22
	;; [unrolled: 1-line block ×3, first 2 shown]
	s_waitcnt lgkmcnt(0)
	s_barrier
	ds_write2_b64 v50, v[42:43], v[26:27] offset1:1
	ds_write_b64 v50, v[46:47] offset:16
	ds_write2_b64 v76, v[30:31], v[36:37] offset1:1
	ds_write_b64 v76, v[14:15] offset:16
	;; [unrolled: 2-line block ×3, first 2 shown]
	s_waitcnt lgkmcnt(0)
	s_barrier
	ds_read_b32 v42, v40
	ds_read2_b32 v[32:33], v38 offset0:108 offset1:216
	ds_read2_b32 v[30:31], v72 offset0:68 offset1:176
	;; [unrolled: 1-line block ×5, first 2 shown]
                                        ; implicit-def: $vgpr74
                                        ; implicit-def: $vgpr20
                                        ; implicit-def: $vgpr23
	s_and_saveexec_b64 s[4:5], s[0:1]
	s_cbranch_execz .LBB0_16
; %bb.15:
	v_add_u32_e32 v4, 0x400, v38
	ds_read2_b32 v[5:6], v4 offset0:26 offset1:134
	v_add_u32_e32 v4, 0x600, v38
	ds_read2_b32 v[36:37], v4 offset0:114 offset1:222
	;; [unrolled: 2-line block ×3, first 2 shown]
	ds_read2_b32 v[22:23], v4 offset0:74 offset1:182
	v_add_u32_e32 v4, 0xe00, v38
	ds_read2_b32 v[19:20], v4 offset0:34 offset1:142
	ds_read_b32 v74, v38 offset:4584
	s_waitcnt lgkmcnt(4)
	v_mov_b32_e32 v7, v36
	s_waitcnt lgkmcnt(3)
	v_mov_b32_e32 v15, v34
	v_mov_b32_e32 v4, v35
	;; [unrolled: 1-line block ×3, first 2 shown]
.LBB0_16:
	s_or_b64 exec, exec, s[4:5]
	s_movk_i32 s4, 0xab
	v_mul_lo_u16_sdwa v11, v10, s4 dst_sel:DWORD dst_unused:UNUSED_PAD src0_sel:BYTE_0 src1_sel:DWORD
	v_lshrrev_b16_e32 v71, 10, v11
	v_mul_lo_u16_e32 v11, 6, v71
	v_sub_u16_e32 v72, v10, v11
	v_mov_b32_e32 v39, 10
	v_mul_u32_u24_sdwa v11, v72, v39 dst_sel:DWORD dst_unused:UNUSED_PAD src0_sel:BYTE_0 src1_sel:DWORD
	v_lshlrev_b32_e32 v11, 3, v11
	global_load_dwordx4 v[34:37], v11, s[12:13] offset:48
	global_load_dwordx4 v[75:78], v11, s[12:13] offset:32
	;; [unrolled: 1-line block ×3, first 2 shown]
	global_load_dwordx4 v[79:82], v11, s[12:13]
	v_add_u32_e32 v14, 0x42, v10
	s_mov_b32 s14, 0xbf75a155
	s_mov_b32 s8, 0x3f575c64
	;; [unrolled: 1-line block ×5, first 2 shown]
	s_movk_i32 s15, 0x108
	s_waitcnt vmcnt(2)
	v_mul_f32_e32 v46, v59, v78
	s_waitcnt lgkmcnt(2)
	v_fmac_f32_e32 v46, v29, v77
	s_waitcnt vmcnt(0)
	v_mul_f32_e32 v67, v62, v80
	v_mul_f32_e32 v41, v32, v80
	v_fmac_f32_e32 v67, v32, v79
	v_mul_f32_e32 v32, v33, v82
	v_fma_f32 v65, v63, v81, -v32
	v_mul_f32_e32 v32, v30, v50
	v_fma_f32 v66, v62, v79, -v41
	v_fma_f32 v62, v60, v49, -v32
	v_mul_f32_e32 v60, v60, v50
	v_mul_f32_e32 v50, v61, v52
	v_fmac_f32_e32 v60, v30, v49
	v_mul_f32_e32 v30, v31, v52
	v_fmac_f32_e32 v50, v31, v51
	v_mul_f32_e32 v31, v58, v76
	v_fma_f32 v49, v61, v51, -v30
	v_mul_f32_e32 v30, v28, v76
	v_fmac_f32_e32 v31, v28, v75
	v_mul_f32_e32 v28, v29, v78
	s_waitcnt lgkmcnt(1)
	v_mul_f32_e32 v29, v26, v35
	v_mul_f32_e32 v63, v63, v82
	v_fma_f32 v29, v56, v34, -v29
	v_mul_f32_e32 v56, v56, v35
	v_fmac_f32_e32 v63, v33, v81
	v_fmac_f32_e32 v56, v26, v34
	global_load_dwordx4 v[32:35], v11, s[12:13] offset:64
	v_mul_f32_e32 v26, v27, v37
	v_fma_f32 v30, v58, v75, -v30
	v_fma_f32 v58, v57, v36, -v26
	v_mul_f32_e32 v57, v57, v37
	v_fma_f32 v28, v59, v77, -v28
	v_fmac_f32_e32 v57, v27, v36
	s_waitcnt vmcnt(0) lgkmcnt(0)
	v_mul_f32_e32 v11, v24, v33
	v_fma_f32 v27, v54, v32, -v11
	v_mul_f32_e32 v59, v54, v33
	v_mul_f32_e32 v11, v25, v35
	v_fmac_f32_e32 v59, v24, v32
	v_fma_f32 v24, v55, v34, -v11
	v_mul_lo_u16_sdwa v11, v14, s4 dst_sel:DWORD dst_unused:UNUSED_PAD src0_sel:BYTE_0 src1_sel:DWORD
	v_mul_f32_e32 v61, v55, v35
	v_lshrrev_b16_e32 v11, 10, v11
	v_fmac_f32_e32 v61, v25, v34
	v_mul_lo_u16_e32 v25, 6, v11
	v_sub_u16_e32 v26, v14, v25
	v_mul_u32_u24_sdwa v25, v26, v39 dst_sel:DWORD dst_unused:UNUSED_PAD src0_sel:BYTE_0 src1_sel:DWORD
	v_lshlrev_b32_e32 v25, 3, v25
	global_load_dwordx4 v[75:78], v25, s[12:13] offset:48
	global_load_dwordx4 v[79:82], v25, s[12:13] offset:32
	global_load_dwordx4 v[32:35], v25, s[12:13] offset:16
	global_load_dwordx4 v[83:86], v25, s[12:13]
	s_waitcnt vmcnt(3)
	v_mul_f32_e32 v41, v53, v76
	v_fmac_f32_e32 v41, v23, v75
	s_waitcnt vmcnt(1)
	v_mul_f32_e32 v47, v2, v33
	s_waitcnt vmcnt(0)
	v_mul_f32_e32 v36, v4, v84
	v_fma_f32 v54, v0, v83, -v36
	v_mul_f32_e32 v55, v0, v84
	v_mul_f32_e32 v0, v5, v86
	v_fma_f32 v51, v1, v85, -v0
	v_mul_f32_e32 v0, v6, v33
	v_fma_f32 v43, v2, v32, -v0
	;; [unrolled: 2-line block ×3, first 2 shown]
	v_mul_f32_e32 v0, v21, v80
	v_fmac_f32_e32 v47, v6, v32
	v_mul_f32_e32 v37, v3, v35
	v_fma_f32 v32, v44, v79, -v0
	v_mul_f32_e32 v0, v22, v82
	v_fmac_f32_e32 v37, v7, v34
	v_fma_f32 v34, v45, v81, -v0
	v_mul_f32_e32 v0, v23, v76
	v_fma_f32 v39, v53, v75, -v0
	v_mul_f32_e32 v0, v19, v78
	v_mul_f32_e32 v52, v1, v86
	;; [unrolled: 1-line block ×3, first 2 shown]
	v_fma_f32 v44, v17, v77, -v0
	global_load_dwordx4 v[0:3], v25, s[12:13] offset:64
	v_fmac_f32_e32 v55, v4, v83
	v_fmac_f32_e32 v52, v5, v85
	;; [unrolled: 1-line block ×3, first 2 shown]
	v_mul_f32_e32 v35, v45, v82
	v_mul_f32_e32 v45, v17, v78
	v_sub_f32_e32 v21, v63, v59
	v_fmac_f32_e32 v35, v22, v81
	v_fmac_f32_e32 v45, v19, v77
	v_mul_f32_e32 v22, 0xbf68dda4, v21
	s_waitcnt vmcnt(0)
	s_barrier
	v_mul_f32_e32 v4, v20, v1
	v_mul_f32_e32 v70, v18, v1
	v_fma_f32 v53, v18, v0, -v4
	v_fmac_f32_e32 v70, v20, v0
	v_mul_f32_e32 v0, v74, v3
	v_fma_f32 v73, v69, v2, -v0
	v_add_f32_e32 v0, v68, v66
	v_add_f32_e32 v0, v0, v65
	;; [unrolled: 1-line block ×7, first 2 shown]
	v_mul_f32_e32 v69, v69, v3
	v_add_f32_e32 v0, v0, v58
	v_fmac_f32_e32 v69, v74, v2
	v_add_f32_e32 v0, v0, v27
	v_sub_f32_e32 v2, v67, v61
	v_add_f32_e32 v1, v0, v24
	v_add_f32_e32 v0, v66, v24
	v_mul_f32_e32 v3, 0xbf0a6770, v2
	v_mul_f32_e32 v5, 0xbf68dda4, v2
	v_mul_f32_e32 v7, 0xbf7d64f0, v2
	v_mul_f32_e32 v18, 0xbf4178ce, v2
	v_mul_f32_e32 v2, 0xbe903f40, v2
	v_fma_f32 v20, v0, s14, -v2
	v_fmac_f32_e32 v2, 0xbf75a155, v0
	v_fma_f32 v4, v0, s8, -v3
	v_fmac_f32_e32 v3, 0x3f575c64, v0
	;; [unrolled: 2-line block ×5, first 2 shown]
	v_add_f32_e32 v0, v68, v2
	v_add_f32_e32 v2, v65, v27
	;; [unrolled: 1-line block ×3, first 2 shown]
	v_fma_f32 v23, v2, s6, -v22
	v_fmac_f32_e32 v22, 0x3ed4b147, v2
	v_add_f32_e32 v4, v68, v4
	v_add_f32_e32 v3, v22, v3
	v_mul_f32_e32 v22, 0xbf4178ce, v21
	v_add_f32_e32 v5, v68, v5
	v_add_f32_e32 v4, v23, v4
	v_fma_f32 v23, v2, s9, -v22
	v_fmac_f32_e32 v22, 0xbf27a4f4, v2
	v_add_f32_e32 v6, v68, v6
	v_add_f32_e32 v5, v22, v5
	v_mul_f32_e32 v22, 0x3e903f40, v21
	v_add_f32_e32 v7, v68, v7
	v_add_f32_e32 v6, v23, v6
	;; [unrolled: 7-line block ×3, first 2 shown]
	v_fma_f32 v23, v2, s7, -v22
	v_fmac_f32_e32 v22, 0xbe11bafb, v2
	v_mul_f32_e32 v21, 0x3f0a6770, v21
	v_add_f32_e32 v18, v22, v18
	v_fma_f32 v22, v2, s8, -v21
	v_fmac_f32_e32 v21, 0x3f575c64, v2
	v_add_f32_e32 v20, v68, v20
	v_add_f32_e32 v0, v21, v0
	v_sub_f32_e32 v21, v60, v57
	v_add_f32_e32 v19, v68, v19
	v_add_f32_e32 v20, v22, v20
	;; [unrolled: 1-line block ×3, first 2 shown]
	v_mul_f32_e32 v22, 0xbf7d64f0, v21
	v_add_f32_e32 v19, v23, v19
	v_fma_f32 v23, v2, s7, -v22
	v_fmac_f32_e32 v22, 0xbe11bafb, v2
	v_add_f32_e32 v3, v22, v3
	v_mul_f32_e32 v22, 0x3e903f40, v21
	v_add_f32_e32 v4, v23, v4
	v_fma_f32 v23, v2, s14, -v22
	v_fmac_f32_e32 v22, 0xbf75a155, v2
	v_add_f32_e32 v5, v22, v5
	;; [unrolled: 5-line block ×3, first 2 shown]
	v_mul_f32_e32 v22, 0xbf0a6770, v21
	v_add_f32_e32 v17, v23, v17
	v_fma_f32 v23, v2, s8, -v22
	v_fmac_f32_e32 v22, 0x3f575c64, v2
	v_mul_f32_e32 v21, 0xbf4178ce, v21
	v_add_f32_e32 v18, v22, v18
	v_fma_f32 v22, v2, s9, -v21
	v_fmac_f32_e32 v21, 0xbf27a4f4, v2
	v_add_f32_e32 v0, v21, v0
	v_sub_f32_e32 v21, v50, v56
	v_add_f32_e32 v20, v22, v20
	v_add_f32_e32 v2, v49, v29
	v_mul_f32_e32 v22, 0xbf4178ce, v21
	v_add_f32_e32 v19, v23, v19
	v_fma_f32 v23, v2, s9, -v22
	v_fmac_f32_e32 v22, 0xbf27a4f4, v2
	v_add_f32_e32 v3, v22, v3
	v_mul_f32_e32 v22, 0x3f7d64f0, v21
	v_add_f32_e32 v4, v23, v4
	v_fma_f32 v23, v2, s7, -v22
	v_fmac_f32_e32 v22, 0xbe11bafb, v2
	;; [unrolled: 5-line block ×4, first 2 shown]
	v_mul_f32_e32 v21, 0x3f68dda4, v21
	v_add_f32_e32 v18, v22, v18
	v_fma_f32 v22, v2, s6, -v21
	v_fmac_f32_e32 v21, 0x3ed4b147, v2
	v_add_f32_e32 v0, v21, v0
	v_sub_f32_e32 v21, v31, v46
	v_add_f32_e32 v20, v22, v20
	v_add_f32_e32 v2, v30, v28
	v_mul_f32_e32 v22, 0xbe903f40, v21
	v_add_f32_e32 v19, v23, v19
	v_fma_f32 v23, v2, s14, -v22
	v_fmac_f32_e32 v22, 0xbf75a155, v2
	v_add_f32_e32 v3, v22, v3
	v_mul_f32_e32 v22, 0x3f0a6770, v21
	v_add_f32_e32 v4, v23, v4
	v_fma_f32 v23, v2, s8, -v22
	v_fmac_f32_e32 v22, 0x3f575c64, v2
	;; [unrolled: 5-line block ×4, first 2 shown]
	v_mul_f32_e32 v21, 0xbf7d64f0, v21
	v_add_f32_e32 v18, v22, v18
	v_fma_f32 v22, v2, s7, -v21
	v_fmac_f32_e32 v21, 0xbe11bafb, v2
	v_add_f32_e32 v2, v21, v0
	v_mov_b32_e32 v0, 2
	v_add_f32_e32 v20, v22, v20
	v_mad_u32_u24 v21, v71, s15, 0
	v_lshlrev_b32_sdwa v22, v0, v72 dst_sel:DWORD dst_unused:UNUSED_PAD src0_sel:DWORD src1_sel:BYTE_0
	v_add3_u32 v68, v21, v22, v48
	v_add_f32_e32 v19, v23, v19
	ds_write2_b32 v68, v1, v4 offset1:6
	ds_write2_b32 v68, v6, v17 offset0:12 offset1:18
	ds_write2_b32 v68, v19, v20 offset0:24 offset1:30
	;; [unrolled: 1-line block ×4, first 2 shown]
	ds_write_b32 v68, v3 offset:240
	s_and_saveexec_b64 s[4:5], s[0:1]
	s_cbranch_execz .LBB0_18
; %bb.17:
	v_sub_f32_e32 v2, v55, v69
	v_mul_f32_e32 v3, 0xbe903f40, v2
	v_sub_f32_e32 v6, v52, v70
	v_add_f32_e32 v1, v54, v73
	v_mov_b32_e32 v4, v3
	v_mul_f32_e32 v7, 0x3f0a6770, v6
	v_fmac_f32_e32 v4, 0xbf75a155, v1
	v_add_f32_e32 v5, v51, v53
	v_mov_b32_e32 v17, v7
	v_sub_f32_e32 v18, v47, v45
	v_add_f32_e32 v4, v16, v4
	v_fmac_f32_e32 v17, 0x3f575c64, v5
	v_mul_f32_e32 v19, 0xbf4178ce, v18
	v_add_f32_e32 v4, v17, v4
	v_add_f32_e32 v17, v43, v44
	v_mov_b32_e32 v20, v19
	v_sub_f32_e32 v21, v37, v41
	v_fma_f32 v3, v1, s14, -v3
	v_fmac_f32_e32 v20, 0xbf27a4f4, v17
	v_mul_f32_e32 v22, 0x3f68dda4, v21
	v_add_f32_e32 v3, v16, v3
	v_fma_f32 v7, v5, s8, -v7
	v_add_f32_e32 v4, v20, v4
	v_add_f32_e32 v20, v36, v39
	v_mov_b32_e32 v23, v22
	v_add_f32_e32 v3, v7, v3
	v_fma_f32 v7, v17, s9, -v19
	v_fmac_f32_e32 v23, 0x3ed4b147, v20
	v_sub_f32_e32 v25, v33, v35
	v_add_f32_e32 v3, v7, v3
	v_fma_f32 v7, v20, s6, -v22
	v_add_f32_e32 v4, v23, v4
	v_add_f32_e32 v23, v32, v34
	v_mul_f32_e32 v71, 0xbf7d64f0, v25
	v_add_f32_e32 v3, v7, v3
	v_mul_f32_e32 v7, 0xbf4178ce, v2
	v_fma_f32 v72, v23, s7, -v71
	v_fmac_f32_e32 v71, 0xbe11bafb, v23
	v_mov_b32_e32 v19, v7
	v_mul_f32_e32 v22, 0x3f7d64f0, v6
	v_add_f32_e32 v4, v71, v4
	v_fmac_f32_e32 v19, 0xbf27a4f4, v1
	v_mov_b32_e32 v71, v22
	v_add_f32_e32 v19, v16, v19
	v_fmac_f32_e32 v71, 0xbe11bafb, v5
	v_add_f32_e32 v19, v71, v19
	v_mul_f32_e32 v71, 0xbf0a6770, v18
	v_add_f32_e32 v3, v72, v3
	v_mov_b32_e32 v72, v71
	v_fmac_f32_e32 v72, 0x3f575c64, v17
	v_add_f32_e32 v19, v72, v19
	v_mul_f32_e32 v72, 0xbe903f40, v21
	v_fma_f32 v7, v1, s9, -v7
	v_fma_f32 v74, v20, s14, -v72
	v_fmac_f32_e32 v72, 0xbf75a155, v20
	v_add_f32_e32 v7, v16, v7
	v_fma_f32 v22, v5, s7, -v22
	v_add_f32_e32 v19, v72, v19
	v_mul_f32_e32 v72, 0x3f68dda4, v25
	v_add_f32_e32 v7, v22, v7
	v_fma_f32 v22, v17, s8, -v71
	v_fma_f32 v75, v23, s6, -v72
	v_fmac_f32_e32 v72, 0x3ed4b147, v23
	v_add_f32_e32 v7, v22, v7
	v_mul_f32_e32 v22, 0xbf7d64f0, v2
	v_add_f32_e32 v19, v72, v19
	v_mov_b32_e32 v71, v22
	v_mul_f32_e32 v72, 0x3e903f40, v6
	v_add_f32_e32 v7, v74, v7
	v_fmac_f32_e32 v71, 0xbe11bafb, v1
	v_mov_b32_e32 v74, v72
	v_add_f32_e32 v71, v16, v71
	v_fmac_f32_e32 v74, 0xbf75a155, v5
	v_add_f32_e32 v71, v74, v71
	v_mul_f32_e32 v74, 0x3f68dda4, v18
	v_add_f32_e32 v7, v75, v7
	v_mov_b32_e32 v75, v74
	v_fmac_f32_e32 v75, 0x3ed4b147, v17
	v_add_f32_e32 v71, v75, v71
	v_mul_f32_e32 v75, 0xbf0a6770, v21
	v_fma_f32 v22, v1, s7, -v22
	v_fma_f32 v76, v20, s8, -v75
	v_fmac_f32_e32 v75, 0x3f575c64, v20
	v_add_f32_e32 v22, v16, v22
	v_fma_f32 v72, v5, s14, -v72
	v_add_f32_e32 v71, v75, v71
	v_mul_f32_e32 v75, 0xbf4178ce, v25
	v_add_f32_e32 v22, v72, v22
	v_fma_f32 v72, v17, s6, -v74
	v_fma_f32 v77, v23, s9, -v75
	v_fmac_f32_e32 v75, 0xbf27a4f4, v23
	v_add_f32_e32 v22, v72, v22
	v_mul_f32_e32 v72, 0xbf68dda4, v2
	v_add_f32_e32 v71, v75, v71
	v_mov_b32_e32 v74, v72
	v_mul_f32_e32 v75, 0xbf4178ce, v6
	v_add_f32_e32 v22, v76, v22
	v_fmac_f32_e32 v74, 0x3ed4b147, v1
	v_mov_b32_e32 v76, v75
	v_add_f32_e32 v74, v16, v74
	v_fmac_f32_e32 v76, 0xbf27a4f4, v5
	v_fma_f32 v72, v1, s6, -v72
	v_add_f32_e32 v74, v76, v74
	v_mul_f32_e32 v76, 0x3e903f40, v18
	v_add_f32_e32 v72, v16, v72
	v_fma_f32 v75, v5, s9, -v75
	v_add_f32_e32 v72, v75, v72
	v_fma_f32 v75, v17, s14, -v76
	v_mul_f32_e32 v2, 0xbf0a6770, v2
	v_add_f32_e32 v22, v77, v22
	v_mov_b32_e32 v77, v76
	v_add_f32_e32 v72, v75, v72
	v_mov_b32_e32 v75, v2
	v_fmac_f32_e32 v77, 0xbf75a155, v17
	v_fmac_f32_e32 v75, 0x3f575c64, v1
	v_mul_f32_e32 v6, 0xbf68dda4, v6
	v_fma_f32 v1, v1, s8, -v2
	v_add_f32_e32 v74, v77, v74
	v_mul_f32_e32 v77, 0x3f7d64f0, v21
	v_mul_f32_e32 v18, 0xbf7d64f0, v18
	v_add_f32_e32 v1, v16, v1
	v_fma_f32 v2, v5, s6, -v6
	v_fma_f32 v78, v20, s7, -v77
	v_fmac_f32_e32 v77, 0xbe11bafb, v20
	v_mul_f32_e32 v21, 0xbf4178ce, v21
	v_add_f32_e32 v1, v2, v1
	v_fma_f32 v2, v17, s7, -v18
	v_add_f32_e32 v74, v77, v74
	v_mul_f32_e32 v77, 0x3f0a6770, v25
	v_mul_f32_e32 v25, 0xbe903f40, v25
	v_add_f32_e32 v1, v2, v1
	v_fma_f32 v2, v20, s9, -v21
	v_add_f32_e32 v1, v2, v1
	v_fma_f32 v2, v23, s14, -v25
	v_add_f32_e32 v1, v2, v1
	v_add_f32_e32 v2, v16, v54
	;; [unrolled: 1-line block ×3, first 2 shown]
	v_mov_b32_e32 v76, v6
	v_add_f32_e32 v2, v2, v43
	v_add_f32_e32 v75, v16, v75
	v_fmac_f32_e32 v76, 0x3ed4b147, v5
	v_add_f32_e32 v2, v2, v36
	v_add_f32_e32 v75, v76, v75
	v_mov_b32_e32 v76, v18
	v_add_f32_e32 v2, v2, v32
	v_fmac_f32_e32 v76, 0xbe11bafb, v17
	v_add_f32_e32 v2, v2, v34
	v_add_f32_e32 v75, v76, v75
	v_mov_b32_e32 v76, v21
	;; [unrolled: 5-line block ×3, first 2 shown]
	v_add_f32_e32 v2, v2, v53
	v_mad_u32_u24 v5, v11, s15, 0
	v_lshlrev_b32_sdwa v0, v0, v26 dst_sel:DWORD dst_unused:UNUSED_PAD src0_sel:DWORD src1_sel:BYTE_0
	v_fma_f32 v79, v23, s8, -v77
	v_fmac_f32_e32 v77, 0x3f575c64, v23
	v_add_f32_e32 v72, v78, v72
	v_fmac_f32_e32 v76, 0xbf75a155, v23
	v_add_f32_e32 v2, v2, v73
	v_add3_u32 v0, v5, v0, v48
	v_add_f32_e32 v74, v77, v74
	v_add_f32_e32 v72, v79, v72
	;; [unrolled: 1-line block ×3, first 2 shown]
	ds_write2_b32 v0, v2, v1 offset1:6
	ds_write2_b32 v0, v72, v22 offset0:12 offset1:18
	ds_write2_b32 v0, v7, v3 offset0:24 offset1:30
	;; [unrolled: 1-line block ×4, first 2 shown]
	ds_write_b32 v0, v75 offset:240
.LBB0_18:
	s_or_b64 exec, exec, s[4:5]
	v_add_f32_e32 v0, v42, v67
	v_add_f32_e32 v0, v0, v63
	v_add_f32_e32 v0, v0, v60
	v_add_f32_e32 v0, v0, v50
	v_add_f32_e32 v0, v0, v31
	v_add_f32_e32 v0, v0, v46
	v_add_f32_e32 v0, v0, v56
	v_add_f32_e32 v0, v0, v57
	v_sub_f32_e32 v1, v66, v24
	v_add_f32_e32 v0, v0, v59
	v_mul_f32_e32 v2, 0xbf0a6770, v1
	v_mul_f32_e32 v4, 0xbf68dda4, v1
	;; [unrolled: 1-line block ×5, first 2 shown]
	v_add_f32_e32 v71, v0, v61
	v_add_f32_e32 v0, v67, v61
	v_mov_b32_e32 v3, v2
	v_mov_b32_e32 v5, v4
	;; [unrolled: 1-line block ×5, first 2 shown]
	v_sub_f32_e32 v19, v65, v27
	v_fmac_f32_e32 v3, 0x3f575c64, v0
	v_fma_f32 v2, v0, s8, -v2
	v_fmac_f32_e32 v5, 0x3ed4b147, v0
	v_fma_f32 v4, v0, s6, -v4
	;; [unrolled: 2-line block ×5, first 2 shown]
	v_add_f32_e32 v1, v63, v59
	v_mul_f32_e32 v20, 0xbf68dda4, v19
	v_add_f32_e32 v2, v42, v2
	v_mov_b32_e32 v21, v20
	v_fma_f32 v20, v1, s6, -v20
	v_add_f32_e32 v3, v42, v3
	v_fmac_f32_e32 v21, 0x3ed4b147, v1
	v_add_f32_e32 v2, v20, v2
	v_mul_f32_e32 v20, 0xbf4178ce, v19
	v_add_f32_e32 v4, v42, v4
	v_add_f32_e32 v3, v21, v3
	v_mov_b32_e32 v21, v20
	v_fma_f32 v20, v1, s9, -v20
	v_add_f32_e32 v5, v42, v5
	v_fmac_f32_e32 v21, 0xbf27a4f4, v1
	v_add_f32_e32 v4, v20, v4
	v_mul_f32_e32 v20, 0x3e903f40, v19
	v_add_f32_e32 v6, v42, v6
	v_add_f32_e32 v5, v21, v5
	v_mov_b32_e32 v21, v20
	v_fma_f32 v20, v1, s14, -v20
	v_add_f32_e32 v7, v42, v7
	v_fmac_f32_e32 v21, 0xbf75a155, v1
	v_add_f32_e32 v6, v20, v6
	v_mul_f32_e32 v20, 0x3f7d64f0, v19
	v_add_f32_e32 v16, v42, v16
	v_add_f32_e32 v7, v21, v7
	v_mov_b32_e32 v21, v20
	v_fma_f32 v20, v1, s7, -v20
	v_mul_f32_e32 v19, 0x3f0a6770, v19
	v_add_f32_e32 v16, v20, v16
	v_mov_b32_e32 v20, v19
	v_add_f32_e32 v18, v42, v18
	v_add_f32_e32 v0, v42, v0
	v_fmac_f32_e32 v21, 0xbe11bafb, v1
	v_fmac_f32_e32 v20, 0x3f575c64, v1
	v_fma_f32 v1, v1, s8, -v19
	v_sub_f32_e32 v19, v62, v58
	v_add_f32_e32 v17, v42, v17
	v_add_f32_e32 v18, v20, v18
	;; [unrolled: 1-line block ×4, first 2 shown]
	v_mul_f32_e32 v20, 0xbf7d64f0, v19
	v_add_f32_e32 v17, v21, v17
	v_mov_b32_e32 v21, v20
	v_fma_f32 v20, v1, s7, -v20
	v_fmac_f32_e32 v21, 0xbe11bafb, v1
	v_add_f32_e32 v2, v20, v2
	v_mul_f32_e32 v20, 0x3e903f40, v19
	v_add_f32_e32 v3, v21, v3
	v_mov_b32_e32 v21, v20
	v_fma_f32 v20, v1, s14, -v20
	v_fmac_f32_e32 v21, 0xbf75a155, v1
	v_add_f32_e32 v4, v20, v4
	;; [unrolled: 6-line block ×3, first 2 shown]
	v_mul_f32_e32 v20, 0xbf0a6770, v19
	v_add_f32_e32 v7, v21, v7
	v_mov_b32_e32 v21, v20
	v_fma_f32 v20, v1, s8, -v20
	v_mul_f32_e32 v19, 0xbf4178ce, v19
	v_add_f32_e32 v16, v20, v16
	v_mov_b32_e32 v20, v19
	v_fmac_f32_e32 v21, 0x3f575c64, v1
	v_fmac_f32_e32 v20, 0xbf27a4f4, v1
	v_fma_f32 v1, v1, s9, -v19
	v_sub_f32_e32 v19, v49, v29
	v_add_f32_e32 v18, v20, v18
	v_add_f32_e32 v0, v1, v0
	;; [unrolled: 1-line block ×3, first 2 shown]
	v_mul_f32_e32 v20, 0xbf4178ce, v19
	v_add_f32_e32 v17, v21, v17
	v_mov_b32_e32 v21, v20
	v_fma_f32 v20, v1, s9, -v20
	v_fmac_f32_e32 v21, 0xbf27a4f4, v1
	v_add_f32_e32 v2, v20, v2
	v_mul_f32_e32 v20, 0x3f7d64f0, v19
	v_add_f32_e32 v3, v21, v3
	v_mov_b32_e32 v21, v20
	v_fma_f32 v20, v1, s7, -v20
	v_fmac_f32_e32 v21, 0xbe11bafb, v1
	v_add_f32_e32 v4, v20, v4
	;; [unrolled: 6-line block ×3, first 2 shown]
	v_mul_f32_e32 v20, 0xbe903f40, v19
	v_add_f32_e32 v7, v21, v7
	v_mov_b32_e32 v21, v20
	v_fma_f32 v20, v1, s14, -v20
	v_mul_f32_e32 v19, 0x3f68dda4, v19
	v_add_f32_e32 v16, v20, v16
	v_mov_b32_e32 v20, v19
	v_fmac_f32_e32 v21, 0xbf75a155, v1
	v_fmac_f32_e32 v20, 0x3ed4b147, v1
	v_fma_f32 v1, v1, s6, -v19
	v_sub_f32_e32 v19, v30, v28
	v_add_f32_e32 v18, v20, v18
	v_mul_f32_e32 v20, 0xbe903f40, v19
	v_add_f32_e32 v17, v21, v17
	v_add_f32_e32 v0, v1, v0
	;; [unrolled: 1-line block ×3, first 2 shown]
	v_mov_b32_e32 v21, v20
	v_fmac_f32_e32 v21, 0xbf75a155, v1
	v_add_f32_e32 v49, v21, v3
	v_fma_f32 v3, v1, s14, -v20
	v_add_f32_e32 v50, v3, v2
	v_mul_f32_e32 v2, 0x3f0a6770, v19
	v_mov_b32_e32 v3, v2
	v_fma_f32 v2, v1, s8, -v2
	v_fmac_f32_e32 v3, 0x3f575c64, v1
	v_add_f32_e32 v57, v2, v4
	v_mul_f32_e32 v2, 0xbf4178ce, v19
	v_add_f32_e32 v56, v3, v5
	v_mov_b32_e32 v3, v2
	v_fma_f32 v2, v1, s9, -v2
	v_fmac_f32_e32 v3, 0xbf27a4f4, v1
	v_add_f32_e32 v59, v2, v6
	v_mul_f32_e32 v2, 0x3f68dda4, v19
	v_add_f32_e32 v58, v3, v7
	;; [unrolled: 6-line block ×3, first 2 shown]
	v_mov_b32_e32 v3, v2
	v_fmac_f32_e32 v3, 0xbe11bafb, v1
	v_fma_f32 v1, v1, s7, -v2
	v_add_u32_e32 v24, 0x800, v38
	v_add_u32_e32 v25, 0xa00, v38
	;; [unrolled: 1-line block ×7, first 2 shown]
	v_add_f32_e32 v62, v3, v18
	v_add_f32_e32 v63, v1, v0
	s_waitcnt lgkmcnt(0)
	s_barrier
	ds_read2_b32 v[22:23], v24 offset0:82 offset1:148
	ds_read2_b32 v[6:7], v38 offset0:66 offset1:132
	;; [unrolled: 1-line block ×8, first 2 shown]
	ds_read_b32 v42, v40
	ds_read_b32 v46, v38 offset:4488
	s_waitcnt lgkmcnt(0)
	s_barrier
	ds_write2_b32 v68, v71, v49 offset1:6
	ds_write2_b32 v68, v56, v58 offset0:12 offset1:18
	ds_write2_b32 v68, v60, v62 offset0:24 offset1:30
	;; [unrolled: 1-line block ×4, first 2 shown]
	ds_write_b32 v68, v50 offset:240
	s_and_saveexec_b64 s[4:5], s[0:1]
	s_cbranch_execz .LBB0_20
; %bb.19:
	v_sub_f32_e32 v54, v54, v73
	v_add_f32_e32 v49, v15, v55
	v_add_f32_e32 v50, v55, v69
	v_mul_f32_e32 v55, 0xbf0a6770, v54
	v_mul_f32_e32 v57, 0xbf68dda4, v54
	v_mul_f32_e32 v59, 0xbf7d64f0, v54
	v_mul_f32_e32 v61, 0xbf4178ce, v54
	v_mul_f32_e32 v54, 0xbe903f40, v54
	s_mov_b32 s0, 0x3f575c64
	s_mov_b32 s1, 0x3ed4b147
	;; [unrolled: 1-line block ×5, first 2 shown]
	v_mov_b32_e32 v63, v54
	v_add_f32_e32 v49, v49, v52
	v_fma_f32 v56, v50, s0, -v55
	v_fmac_f32_e32 v55, 0x3f575c64, v50
	v_fma_f32 v58, v50, s1, -v57
	v_fmac_f32_e32 v57, 0x3ed4b147, v50
	;; [unrolled: 2-line block ×4, first 2 shown]
	v_fmac_f32_e32 v63, 0xbf75a155, v50
	v_fma_f32 v50, v50, s8, -v54
	v_sub_f32_e32 v51, v51, v53
	v_add_f32_e32 v49, v49, v47
	v_add_f32_e32 v55, v15, v55
	;; [unrolled: 1-line block ×12, first 2 shown]
	v_mul_f32_e32 v52, 0xbf68dda4, v51
	v_add_f32_e32 v49, v49, v37
	v_fma_f32 v53, v50, s1, -v52
	v_fmac_f32_e32 v52, 0x3ed4b147, v50
	v_mul_f32_e32 v54, 0xbf4178ce, v51
	v_add_f32_e32 v49, v49, v33
	v_add_f32_e32 v52, v52, v55
	;; [unrolled: 1-line block ×3, first 2 shown]
	v_fma_f32 v55, v50, s7, -v54
	v_fmac_f32_e32 v54, 0xbf27a4f4, v50
	v_mul_f32_e32 v56, 0x3e903f40, v51
	v_add_f32_e32 v49, v49, v35
	v_add_f32_e32 v54, v54, v57
	;; [unrolled: 1-line block ×3, first 2 shown]
	v_fma_f32 v57, v50, s8, -v56
	v_mul_f32_e32 v58, 0x3f7d64f0, v51
	v_mul_f32_e32 v51, 0x3f0a6770, v51
	v_add_f32_e32 v49, v49, v41
	v_fmac_f32_e32 v56, 0xbf75a155, v50
	v_add_f32_e32 v57, v57, v60
	v_mov_b32_e32 v60, v51
	v_sub_f32_e32 v43, v43, v44
	v_add_f32_e32 v49, v49, v45
	v_add_f32_e32 v56, v56, v59
	v_fma_f32 v59, v50, s6, -v58
	v_fmac_f32_e32 v58, 0xbe11bafb, v50
	v_fmac_f32_e32 v60, 0x3f575c64, v50
	v_fma_f32 v50, v50, s0, -v51
	v_add_f32_e32 v45, v47, v45
	v_mul_f32_e32 v44, 0xbf7d64f0, v43
	v_add_f32_e32 v15, v50, v15
	v_fma_f32 v47, v45, s6, -v44
	v_fmac_f32_e32 v44, 0xbe11bafb, v45
	v_mul_f32_e32 v50, 0x3e903f40, v43
	v_add_f32_e32 v44, v44, v52
	v_fma_f32 v51, v45, s8, -v50
	v_fmac_f32_e32 v50, 0xbf75a155, v45
	v_mul_f32_e32 v52, 0x3f68dda4, v43
	v_add_f32_e32 v47, v47, v53
	v_add_f32_e32 v50, v50, v54
	v_fma_f32 v53, v45, s1, -v52
	v_fmac_f32_e32 v52, 0x3ed4b147, v45
	v_mul_f32_e32 v54, 0xbf0a6770, v43
	v_mul_f32_e32 v43, 0xbf4178ce, v43
	v_sub_f32_e32 v36, v36, v39
	v_add_f32_e32 v52, v52, v56
	v_mov_b32_e32 v56, v43
	v_fma_f32 v43, v45, s7, -v43
	v_add_f32_e32 v37, v37, v41
	v_mul_f32_e32 v39, 0xbf4178ce, v36
	v_add_f32_e32 v15, v43, v15
	v_fma_f32 v41, v37, s7, -v39
	v_fmac_f32_e32 v39, 0xbf27a4f4, v37
	v_mul_f32_e32 v43, 0x3f7d64f0, v36
	v_add_f32_e32 v51, v51, v55
	v_fma_f32 v55, v45, s0, -v54
	v_fmac_f32_e32 v54, 0x3f575c64, v45
	v_fmac_f32_e32 v56, 0xbf27a4f4, v45
	v_add_f32_e32 v39, v39, v44
	v_fma_f32 v44, v37, s6, -v43
	v_fmac_f32_e32 v43, 0xbe11bafb, v37
	v_mul_f32_e32 v45, 0xbf0a6770, v36
	v_add_f32_e32 v41, v41, v47
	v_add_f32_e32 v43, v43, v50
	v_fma_f32 v47, v37, s0, -v45
	v_fmac_f32_e32 v45, 0x3f575c64, v37
	v_mul_f32_e32 v50, 0xbe903f40, v36
	v_mul_f32_e32 v36, 0x3f68dda4, v36
	v_sub_f32_e32 v32, v32, v34
	v_add_f32_e32 v45, v45, v52
	v_mov_b32_e32 v52, v36
	v_fma_f32 v36, v37, s1, -v36
	v_add_f32_e32 v33, v33, v35
	v_mul_f32_e32 v34, 0xbe903f40, v32
	v_add_f32_e32 v15, v36, v15
	v_fma_f32 v35, v33, s8, -v34
	v_fmac_f32_e32 v34, 0xbf75a155, v33
	v_mul_f32_e32 v36, 0x3f0a6770, v32
	v_add_f32_e32 v44, v44, v51
	v_fma_f32 v51, v37, s8, -v50
	v_fmac_f32_e32 v50, 0xbf75a155, v37
	v_fmac_f32_e32 v52, 0x3ed4b147, v37
	v_add_f32_e32 v34, v34, v39
	v_fma_f32 v37, v33, s0, -v36
	v_fmac_f32_e32 v36, 0x3f575c64, v33
	v_mul_f32_e32 v39, 0xbf4178ce, v32
	v_add_f32_e32 v35, v35, v41
	v_add_f32_e32 v36, v36, v43
	v_fma_f32 v41, v33, s7, -v39
	v_fmac_f32_e32 v39, 0xbf27a4f4, v33
	v_mul_f32_e32 v43, 0x3f68dda4, v32
	v_mul_f32_e32 v32, 0xbf7d64f0, v32
	v_add_f32_e32 v39, v39, v45
	v_mov_b32_e32 v45, v32
	v_fma_f32 v32, v33, s6, -v32
	v_add_f32_e32 v58, v58, v61
	v_add_f32_e32 v59, v59, v62
	;; [unrolled: 1-line block ×4, first 2 shown]
	s_movk_i32 s0, 0x108
	v_mov_b32_e32 v32, 2
	v_add_f32_e32 v49, v49, v70
	v_add_f32_e32 v53, v53, v57
	;; [unrolled: 1-line block ×5, first 2 shown]
	v_mad_u32_u24 v11, v11, s0, 0
	v_lshlrev_b32_sdwa v26, v32, v26 dst_sel:DWORD dst_unused:UNUSED_PAD src0_sel:DWORD src1_sel:BYTE_0
	v_add_f32_e32 v49, v49, v69
	v_add_f32_e32 v47, v47, v53
	;; [unrolled: 1-line block ×6, first 2 shown]
	v_fma_f32 v44, v33, s1, -v43
	v_fmac_f32_e32 v43, 0x3ed4b147, v33
	v_fmac_f32_e32 v45, 0xbe11bafb, v33
	v_add3_u32 v11, v11, v26, v48
	v_add_f32_e32 v41, v41, v47
	v_add_f32_e32 v43, v43, v50
	;; [unrolled: 1-line block ×4, first 2 shown]
	ds_write2_b32 v11, v49, v34 offset1:6
	ds_write2_b32 v11, v36, v39 offset0:12 offset1:18
	ds_write2_b32 v11, v43, v45 offset0:24 offset1:30
	;; [unrolled: 1-line block ×4, first 2 shown]
	ds_write_b32 v11, v35 offset:240
.LBB0_20:
	s_or_b64 exec, exec, s[4:5]
	v_mov_b32_e32 v11, 0
	v_lshlrev_b64 v[61:62], 3, v[10:11]
	v_mov_b32_e32 v47, s13
	v_add_co_u32_e64 v61, s[0:1], s12, v61
	v_addc_co_u32_e64 v62, s[0:1], v47, v62, s[0:1]
	s_waitcnt lgkmcnt(0)
	s_barrier
	ds_read_b32 v41, v40
	ds_read2_b32 v[35:36], v24 offset0:82 offset1:148
	ds_read2_b32 v[43:44], v38 offset0:66 offset1:132
	;; [unrolled: 1-line block ×8, first 2 shown]
	ds_read_b32 v45, v38 offset:4488
	global_load_dwordx2 v[61:62], v[61:62], off offset:480
	v_add_u32_e32 v26, 0x84, v10
	s_movk_i32 s0, 0xf9
	v_add_u32_e32 v32, 0xc6, v10
	v_add_u32_e32 v33, 0x108, v10
	;; [unrolled: 1-line block ×6, first 2 shown]
	v_lshlrev_b32_e32 v10, 1, v10
	s_movk_i32 s4, 0x1000
	s_waitcnt vmcnt(0) lgkmcnt(8)
	v_mul_f32_e32 v63, v35, v62
	v_fma_f32 v63, v22, v61, -v63
	v_mul_f32_e32 v65, v22, v62
	v_mul_f32_e32 v22, v36, v62
	v_fmac_f32_e32 v65, v35, v61
	v_fma_f32 v35, v23, v61, -v22
	v_mul_lo_u16_sdwa v22, v26, s0 dst_sel:DWORD dst_unused:UNUSED_PAD src0_sel:BYTE_0 src1_sel:DWORD
	v_lshrrev_b16_e32 v22, 14, v22
	v_mul_f32_e32 v62, v23, v62
	v_mul_lo_u16_e32 v22, 0x42, v22
	v_fmac_f32_e32 v62, v36, v61
	v_sub_u16_e32 v36, v26, v22
	v_mov_b32_e32 v22, 3
	v_lshlrev_b32_sdwa v22, v22, v36 dst_sel:DWORD dst_unused:UNUSED_PAD src0_sel:DWORD src1_sel:BYTE_0
	global_load_dwordx2 v[22:23], v22, s[12:13] offset:480
	s_mov_b32 s0, 0xf83f
	v_mul_u32_u24_sdwa v69, v33, s0 dst_sel:DWORD dst_unused:UNUSED_PAD src0_sel:WORD_0 src1_sel:DWORD
	v_mul_u32_u24_sdwa v70, v34, s0 dst_sel:DWORD dst_unused:UNUSED_PAD src0_sel:WORD_0 src1_sel:DWORD
	v_sub_f32_e32 v35, v6, v35
	v_fma_f32 v6, v6, 2.0, -v35
	s_waitcnt lgkmcnt(7)
	v_sub_f32_e32 v62, v43, v62
	s_waitcnt vmcnt(0) lgkmcnt(6)
	v_mul_f32_e32 v61, v49, v23
	v_fma_f32 v61, v20, v22, -v61
	v_mul_f32_e32 v66, v20, v23
	v_mul_u32_u24_sdwa v20, v32, s0 dst_sel:DWORD dst_unused:UNUSED_PAD src0_sel:WORD_0 src1_sel:DWORD
	v_lshrrev_b32_e32 v20, 22, v20
	v_mul_lo_u16_e32 v20, 0x42, v20
	v_fmac_f32_e32 v66, v49, v22
	v_sub_u16_e32 v49, v32, v20
	v_lshlrev_b32_e32 v20, 3, v49
	global_load_dwordx2 v[22:23], v20, s[12:13] offset:480
	s_waitcnt vmcnt(0)
	v_mul_f32_e32 v20, v50, v23
	v_fma_f32 v67, v21, v22, -v20
	v_lshrrev_b32_e32 v20, 22, v69
	v_mul_f32_e32 v23, v21, v23
	v_mul_lo_u16_e32 v20, 0x42, v20
	v_fmac_f32_e32 v23, v50, v22
	v_sub_u16_e32 v22, v33, v20
	v_lshlrev_b32_e32 v20, 3, v22
	global_load_dwordx2 v[20:21], v20, s[12:13] offset:480
	s_waitcnt vmcnt(0) lgkmcnt(4)
	v_mul_f32_e32 v50, v53, v21
	v_fma_f32 v50, v18, v20, -v50
	v_mul_f32_e32 v68, v18, v21
	v_lshrrev_b32_e32 v18, 22, v70
	v_mul_lo_u16_e32 v18, 0x42, v18
	v_fmac_f32_e32 v68, v53, v20
	v_sub_u16_e32 v53, v34, v18
	v_lshlrev_b32_e32 v18, 3, v53
	global_load_dwordx2 v[20:21], v18, s[12:13] offset:480
	v_sub_f32_e32 v68, v52, v68
	v_fma_f32 v52, v52, 2.0, -v68
	s_waitcnt vmcnt(0)
	v_mul_f32_e32 v18, v54, v21
	v_fma_f32 v71, v19, v20, -v18
	v_mul_u32_u24_sdwa v18, v15, s0 dst_sel:DWORD dst_unused:UNUSED_PAD src0_sel:WORD_0 src1_sel:DWORD
	v_lshrrev_b32_e32 v18, 22, v18
	v_mul_f32_e32 v21, v19, v21
	v_mul_lo_u16_e32 v18, 0x42, v18
	v_fmac_f32_e32 v21, v54, v20
	v_sub_u16_e32 v20, v15, v18
	v_lshlrev_b32_e32 v15, 3, v20
	global_load_dwordx2 v[18:19], v15, s[12:13] offset:480
	s_waitcnt vmcnt(0) lgkmcnt(2)
	v_mul_f32_e32 v15, v57, v19
	v_fma_f32 v54, v16, v18, -v15
	v_mul_u32_u24_sdwa v15, v37, s0 dst_sel:DWORD dst_unused:UNUSED_PAD src0_sel:WORD_0 src1_sel:DWORD
	v_lshrrev_b32_e32 v15, 22, v15
	v_mul_f32_e32 v19, v16, v19
	v_mul_lo_u16_e32 v15, 0x42, v15
	v_fmac_f32_e32 v19, v57, v18
	v_sub_u16_e32 v18, v37, v15
	v_lshlrev_b32_e32 v15, 3, v18
	global_load_dwordx2 v[15:16], v15, s[12:13] offset:480
	s_waitcnt vmcnt(0)
	v_mul_f32_e32 v37, v58, v16
	v_fma_f32 v37, v17, v15, -v37
	v_mul_f32_e32 v17, v17, v16
	v_fmac_f32_e32 v17, v58, v15
	v_mul_u32_u24_sdwa v15, v39, s0 dst_sel:DWORD dst_unused:UNUSED_PAD src0_sel:WORD_0 src1_sel:DWORD
	v_lshrrev_b32_e32 v15, 22, v15
	v_mul_lo_u16_e32 v15, 0x42, v15
	v_sub_u16_e32 v39, v39, v15
	v_lshlrev_b32_e32 v15, 3, v39
	global_load_dwordx2 v[15:16], v15, s[12:13] offset:480
	s_waitcnt vmcnt(0) lgkmcnt(0)
	s_barrier
	v_sub_f32_e32 v58, v41, v65
	v_fma_f32 v65, v43, 2.0, -v62
	v_sub_f32_e32 v43, v4, v67
	v_fma_f32 v4, v4, 2.0, -v43
	v_sub_f32_e32 v67, v51, v23
	v_sub_f32_e32 v23, v5, v50
	v_fma_f32 v5, v5, 2.0, -v23
	v_sub_f32_e32 v17, v59, v17
	v_fma_f32 v51, v51, 2.0, -v67
	v_mul_f32_e32 v57, v45, v16
	v_mul_f32_e32 v16, v46, v16
	v_fma_f32 v57, v46, v15, -v57
	v_fmac_f32_e32 v16, v45, v15
	v_sub_f32_e32 v15, v42, v63
	v_fma_f32 v42, v42, 2.0, -v15
	ds_write2_b32 v38, v42, v15 offset1:66
	ds_write2_b32 v38, v6, v35 offset0:132 offset1:198
	v_mov_b32_e32 v6, 2
	v_lshlrev_b32_sdwa v6, v6, v36 dst_sel:DWORD dst_unused:UNUSED_PAD src0_sel:DWORD src1_sel:BYTE_0
	v_fma_f32 v63, v41, 2.0, -v58
	v_sub_f32_e32 v41, v7, v61
	v_add3_u32 v6, 0, v6, v48
	v_fma_f32 v7, v7, 2.0, -v41
	v_add_u32_e32 v6, 0x400, v6
	ds_write2_b32 v6, v7, v41 offset0:8 offset1:74
	v_lshlrev_b32_e32 v7, 2, v49
	v_add3_u32 v7, 0, v7, v48
	v_add_u32_e32 v7, 0x400, v7
	ds_write2_b32 v7, v4, v43 offset0:140 offset1:206
	v_lshlrev_b32_e32 v4, 2, v22
	v_add3_u32 v4, 0, v4, v48
	v_add_u32_e32 v4, 0x800, v4
	v_sub_f32_e32 v61, v44, v66
	ds_write2_b32 v4, v5, v23 offset0:16 offset1:82
	v_lshlrev_b32_e32 v5, 2, v53
	v_fma_f32 v66, v44, 2.0, -v61
	v_sub_f32_e32 v44, v2, v71
	v_add3_u32 v5, 0, v5, v48
	v_fma_f32 v2, v2, 2.0, -v44
	v_add_u32_e32 v5, 0x800, v5
	ds_write2_b32 v5, v2, v44 offset0:148 offset1:214
	v_lshlrev_b32_e32 v2, 2, v20
	v_sub_f32_e32 v71, v55, v21
	v_sub_f32_e32 v21, v3, v54
	v_add3_u32 v2, 0, v2, v48
	v_fma_f32 v3, v3, 2.0, -v21
	v_add_u32_e32 v2, 0xc00, v2
	ds_write2_b32 v2, v3, v21 offset0:24 offset1:90
	v_lshlrev_b32_e32 v3, 2, v18
	v_sub_f32_e32 v54, v56, v19
	;; [unrolled: 7-line block ×3, first 2 shown]
	v_add3_u32 v0, 0, v0, v48
	v_sub_f32_e32 v16, v60, v16
	v_fma_f32 v1, v1, 2.0, -v45
	v_add_u32_e32 v0, 0x1000, v0
	v_fma_f32 v55, v55, 2.0, -v71
	v_fma_f32 v56, v56, 2.0, -v54
	;; [unrolled: 1-line block ×4, first 2 shown]
	ds_write2_b32 v0, v1, v45 offset0:32 offset1:98
	s_waitcnt lgkmcnt(0)
	s_barrier
	ds_read_b32 v39, v40
	ds_read2_b32 v[18:19], v31 offset0:74 offset1:140
	ds_read2_b32 v[20:21], v25 offset0:86 offset1:152
	;; [unrolled: 1-line block ×8, first 2 shown]
	ds_read_b32 v72, v38 offset:4488
	s_waitcnt lgkmcnt(0)
	s_barrier
	ds_write2_b32 v38, v63, v58 offset1:66
	ds_write2_b32 v38, v65, v62 offset0:132 offset1:198
	ds_write2_b32 v6, v66, v61 offset0:8 offset1:74
	;; [unrolled: 1-line block ×8, first 2 shown]
	v_lshlrev_b64 v[0:1], 3, v[10:11]
	s_waitcnt lgkmcnt(0)
	v_add_co_u32_e64 v0, s[0:1], s12, v0
	v_addc_co_u32_e64 v1, s[0:1], v47, v1, s[0:1]
	s_barrier
	ds_read_b32 v37, v40
	ds_read2_b32 v[51:52], v31 offset0:74 offset1:140
	ds_read2_b32 v[53:54], v25 offset0:86 offset1:152
	;; [unrolled: 1-line block ×8, first 2 shown]
	ds_read_b32 v63, v38 offset:4488
	global_load_dwordx4 v[4:7], v[0:1], off offset:1008
	v_lshlrev_b32_e32 v10, 1, v14
	s_waitcnt vmcnt(0) lgkmcnt(8)
	v_mul_f32_e32 v2, v52, v5
	v_fma_f32 v71, v19, v4, -v2
	v_mul_f32_e32 v19, v19, v5
	s_waitcnt lgkmcnt(7)
	v_mul_f32_e32 v2, v54, v7
	v_fmac_f32_e32 v19, v52, v4
	v_fma_f32 v52, v21, v6, -v2
	v_lshlrev_b64 v[2:3], 3, v[10:11]
	v_mul_f32_e32 v21, v21, v7
	v_add_co_u32_e64 v2, s[0:1], s12, v2
	v_addc_co_u32_e64 v3, s[0:1], v47, v3, s[0:1]
	global_load_dwordx4 v[14:17], v[2:3], off offset:1008
	v_fmac_f32_e32 v21, v54, v6
	s_waitcnt lgkmcnt(5)
	v_mul_f32_e32 v54, v58, v5
	v_fma_f32 v54, v36, v4, -v54
	v_mul_f32_e32 v36, v36, v5
	v_fmac_f32_e32 v36, v58, v4
	s_waitcnt lgkmcnt(4)
	v_mul_f32_e32 v4, v60, v7
	s_waitcnt vmcnt(0)
	v_mul_f32_e32 v10, v57, v15
	v_fma_f32 v10, v35, v14, -v10
	v_mul_f32_e32 v35, v35, v15
	v_fmac_f32_e32 v35, v57, v14
	v_fma_f32 v57, v42, v6, -v4
	s_waitcnt lgkmcnt(2)
	v_mul_f32_e32 v4, v65, v15
	v_fma_f32 v58, v45, v14, -v4
	v_mul_f32_e32 v15, v45, v15
	s_waitcnt lgkmcnt(1)
	v_mul_f32_e32 v4, v67, v17
	v_mul_f32_e32 v47, v59, v17
	v_fmac_f32_e32 v15, v65, v14
	v_fma_f32 v14, v49, v16, -v4
	v_lshrrev_b32_e32 v4, 23, v69
	v_fma_f32 v47, v41, v16, -v47
	v_mul_f32_e32 v41, v41, v17
	v_mul_f32_e32 v17, v49, v17
	v_mul_lo_u16_e32 v4, 0x84, v4
	v_fmac_f32_e32 v41, v59, v16
	v_fmac_f32_e32 v17, v67, v16
	v_sub_u16_e32 v16, v33, v4
	v_mul_f32_e32 v42, v42, v7
	v_lshlrev_b32_e32 v4, 4, v16
	v_fmac_f32_e32 v42, v60, v6
	global_load_dwordx4 v[4:7], v4, s[12:13] offset:1008
	s_waitcnt vmcnt(0)
	v_mul_f32_e32 v45, v66, v5
	v_fma_f32 v45, v46, v4, -v45
	v_mul_f32_e32 v46, v46, v5
	v_fmac_f32_e32 v46, v66, v4
	v_mul_f32_e32 v4, v68, v7
	v_fma_f32 v49, v50, v6, -v4
	v_lshrrev_b32_e32 v4, 23, v70
	v_mul_lo_u16_e32 v4, 0x84, v4
	v_sub_u16_e32 v59, v34, v4
	v_mul_f32_e32 v50, v50, v7
	v_lshlrev_b32_e32 v4, 4, v59
	v_fmac_f32_e32 v50, v68, v6
	global_load_dwordx4 v[4:7], v4, s[12:13] offset:1008
	s_waitcnt vmcnt(0) lgkmcnt(0)
	s_barrier
	v_mul_f32_e32 v60, v53, v5
	v_mul_f32_e32 v5, v20, v5
	v_fma_f32 v60, v20, v4, -v60
	v_fmac_f32_e32 v5, v53, v4
	v_mul_f32_e32 v4, v63, v7
	v_mul_f32_e32 v7, v72, v7
	v_add_f32_e32 v20, v71, v52
	v_fma_f32 v4, v72, v6, -v4
	v_fmac_f32_e32 v7, v63, v6
	v_add_f32_e32 v6, v39, v71
	v_fmac_f32_e32 v39, -0.5, v20
	v_sub_f32_e32 v20, v19, v21
	v_mov_b32_e32 v53, v39
	v_fmac_f32_e32 v53, 0x3f5db3d7, v20
	v_fmac_f32_e32 v39, 0xbf5db3d7, v20
	v_add_f32_e32 v20, v37, v19
	v_add_f32_e32 v19, v19, v21
	;; [unrolled: 1-line block ×3, first 2 shown]
	v_fmac_f32_e32 v37, -0.5, v19
	v_add_f32_e32 v20, v10, v47
	v_add_f32_e32 v6, v6, v52
	v_sub_f32_e32 v19, v71, v52
	v_mov_b32_e32 v52, v37
	v_fma_f32 v20, -0.5, v20, v22
	v_fmac_f32_e32 v52, 0xbf5db3d7, v19
	v_fmac_f32_e32 v37, 0x3f5db3d7, v19
	v_add_f32_e32 v19, v22, v10
	v_sub_f32_e32 v21, v35, v41
	v_mov_b32_e32 v22, v20
	v_fmac_f32_e32 v22, 0x3f5db3d7, v21
	v_fmac_f32_e32 v20, 0xbf5db3d7, v21
	v_add_f32_e32 v21, v55, v35
	v_add_f32_e32 v65, v21, v41
	v_add_f32_e32 v21, v35, v41
	v_fma_f32 v41, -0.5, v21, v55
	v_add_f32_e32 v19, v19, v47
	v_sub_f32_e32 v10, v10, v47
	v_mov_b32_e32 v47, v41
	v_add_f32_e32 v21, v54, v57
	v_fmac_f32_e32 v47, 0xbf5db3d7, v10
	v_fmac_f32_e32 v41, 0x3f5db3d7, v10
	v_add_f32_e32 v10, v23, v54
	v_fmac_f32_e32 v23, -0.5, v21
	v_sub_f32_e32 v21, v36, v42
	v_mov_b32_e32 v35, v23
	v_fmac_f32_e32 v35, 0x3f5db3d7, v21
	v_fmac_f32_e32 v23, 0xbf5db3d7, v21
	v_add_f32_e32 v21, v56, v36
	v_add_f32_e32 v55, v21, v42
	;; [unrolled: 1-line block ×3, first 2 shown]
	v_fmac_f32_e32 v56, -0.5, v21
	v_add_f32_e32 v42, v58, v14
	v_sub_f32_e32 v21, v54, v57
	v_mov_b32_e32 v36, v56
	v_fma_f32 v42, -0.5, v42, v43
	v_fmac_f32_e32 v36, 0xbf5db3d7, v21
	v_fmac_f32_e32 v56, 0x3f5db3d7, v21
	v_add_f32_e32 v21, v43, v58
	v_sub_f32_e32 v43, v15, v17
	v_mov_b32_e32 v54, v42
	v_fmac_f32_e32 v54, 0x3f5db3d7, v43
	v_fmac_f32_e32 v42, 0xbf5db3d7, v43
	v_add_f32_e32 v43, v61, v15
	v_add_f32_e32 v15, v15, v17
	;; [unrolled: 1-line block ×3, first 2 shown]
	v_fma_f32 v57, -0.5, v15, v61
	v_add_f32_e32 v21, v21, v14
	v_sub_f32_e32 v14, v58, v14
	v_mov_b32_e32 v58, v57
	v_add_f32_e32 v15, v45, v49
	v_fmac_f32_e32 v58, 0xbf5db3d7, v14
	v_fmac_f32_e32 v57, 0x3f5db3d7, v14
	v_add_f32_e32 v14, v44, v45
	v_fmac_f32_e32 v44, -0.5, v15
	v_add_f32_e32 v43, v43, v17
	v_sub_f32_e32 v15, v46, v50
	v_mov_b32_e32 v17, v44
	v_fmac_f32_e32 v17, 0x3f5db3d7, v15
	v_fmac_f32_e32 v44, 0xbf5db3d7, v15
	v_add_f32_e32 v15, v62, v46
	v_add_f32_e32 v61, v15, v50
	;; [unrolled: 1-line block ×3, first 2 shown]
	v_fmac_f32_e32 v62, -0.5, v15
	v_sub_f32_e32 v15, v45, v49
	v_mov_b32_e32 v45, v62
	v_add_f32_e32 v46, v60, v4
	v_fmac_f32_e32 v45, 0xbf5db3d7, v15
	v_fmac_f32_e32 v62, 0x3f5db3d7, v15
	v_add_f32_e32 v15, v18, v60
	v_fmac_f32_e32 v18, -0.5, v46
	v_add_f32_e32 v14, v14, v49
	v_sub_f32_e32 v46, v5, v7
	v_mov_b32_e32 v49, v18
	v_fmac_f32_e32 v49, 0x3f5db3d7, v46
	v_fmac_f32_e32 v18, 0xbf5db3d7, v46
	v_add_f32_e32 v46, v51, v5
	v_add_f32_e32 v5, v5, v7
	v_fmac_f32_e32 v51, -0.5, v5
	v_add_f32_e32 v15, v15, v4
	v_sub_f32_e32 v4, v60, v4
	v_mov_b32_e32 v50, v51
	v_fmac_f32_e32 v50, 0xbf5db3d7, v4
	v_fmac_f32_e32 v51, 0x3f5db3d7, v4
	v_lshlrev_b32_e32 v4, 2, v16
	ds_write2_b32 v27, v53, v39 offset0:4 offset1:136
	ds_write2_b32 v38, v6, v19 offset1:66
	ds_write2_b32 v27, v22, v20 offset0:70 offset1:202
	ds_write2_b32 v28, v10, v35 offset0:12 offset1:144
	ds_write_b32 v38, v23 offset:2640
	ds_write2_b32 v28, v21, v54 offset0:78 offset1:210
	ds_write_b32 v38, v42 offset:2904
	v_add3_u32 v10, 0, v4, v48
	v_lshlrev_b32_e32 v4, 2, v59
	v_add_u32_e32 v39, 0xc00, v10
	v_add3_u32 v42, 0, v4, v48
	ds_write2_b32 v39, v14, v17 offset0:24 offset1:156
	ds_write_b32 v10, v44 offset:4224
	v_add_u32_e32 v44, 0xc00, v42
	v_add_f32_e32 v46, v46, v7
	ds_write2_b32 v44, v15, v49 offset0:24 offset1:156
	ds_write_b32 v42, v18 offset:4224
	s_waitcnt lgkmcnt(0)
	s_barrier
	ds_read_b32 v35, v40
	ds_read2_b32 v[6:7], v31 offset0:74 offset1:140
	ds_read2_b32 v[4:5], v25 offset0:86 offset1:152
	ds_read2_b32 v[14:15], v38 offset0:66 offset1:132
	ds_read2_b32 v[18:19], v28 offset0:78 offset1:144
	ds_read2_b32 v[16:17], v29 offset0:90 offset1:156
	ds_read2_b32 v[20:21], v27 offset0:70 offset1:136
	ds_read2_b32 v[24:25], v24 offset0:82 offset1:148
	ds_read2_b32 v[22:23], v30 offset0:94 offset1:160
	ds_read_b32 v29, v38 offset:4488
	s_waitcnt lgkmcnt(0)
	s_barrier
	ds_write2_b32 v27, v52, v37 offset0:4 offset1:136
	ds_write2_b32 v38, v63, v65 offset1:66
	ds_write2_b32 v27, v47, v41 offset0:70 offset1:202
	ds_write2_b32 v28, v55, v36 offset0:12 offset1:144
	ds_write_b32 v38, v56 offset:2640
	ds_write2_b32 v28, v43, v58 offset0:78 offset1:210
	ds_write_b32 v38, v57 offset:2904
	;; [unrolled: 2-line block ×4, first 2 shown]
	s_waitcnt lgkmcnt(0)
	s_barrier
	s_and_saveexec_b64 s[0:1], vcc
	s_cbranch_execz .LBB0_22
; %bb.21:
	v_lshlrev_b32_e32 v10, 1, v34
	v_lshlrev_b64 v[27:28], 3, v[10:11]
	v_mov_b32_e32 v34, s13
	v_add_co_u32_e32 v27, vcc, s12, v27
	v_addc_co_u32_e32 v28, vcc, v34, v28, vcc
	v_lshlrev_b32_e32 v10, 1, v33
	global_load_dwordx4 v[41:44], v[27:28], off offset:3120
	v_lshlrev_b64 v[27:28], 3, v[10:11]
	v_lshlrev_b32_e32 v10, 1, v32
	v_add_co_u32_e32 v27, vcc, s12, v27
	v_addc_co_u32_e32 v28, vcc, v34, v28, vcc
	global_load_dwordx4 v[45:48], v[27:28], off offset:3120
	v_lshlrev_b64 v[27:28], 3, v[10:11]
	v_add_u32_e32 v10, 0x400, v38
	v_add_co_u32_e32 v27, vcc, s12, v27
	v_addc_co_u32_e32 v28, vcc, v34, v28, vcc
	global_load_dwordx4 v[30:33], v[27:28], off offset:3120
	v_add_u32_e32 v27, 0xa00, v38
	v_add_u32_e32 v49, 0x800, v38
	;; [unrolled: 1-line block ×4, first 2 shown]
	ds_read_b32 v60, v38 offset:4488
	ds_read_b32 v63, v40
	ds_read2_b32 v[36:37], v10 offset0:74 offset1:140
	ds_read2_b32 v[39:40], v27 offset0:86 offset1:152
	;; [unrolled: 1-line block ×5, first 2 shown]
	v_lshlrev_b32_e32 v10, 1, v26
	v_lshlrev_b64 v[26:27], 3, v[10:11]
	v_mul_lo_u32 v28, s3, v12
	v_add_co_u32_e32 v26, vcc, s12, v26
	v_addc_co_u32_e32 v27, vcc, v34, v27, vcc
	v_mul_lo_u32 v59, s2, v13
	v_mad_u64_u32 v[12:13], s[0:1], s2, v12, 0
	global_load_dwordx4 v[49:52], v[26:27], off offset:3120
	s_mov_b32 s0, 0xa57eb503
	v_add3_u32 v13, v13, v59, v28
	s_movk_i32 s1, 0x4a4
	s_waitcnt vmcnt(3)
	v_mul_f32_e32 v10, v4, v42
	v_mul_f32_e32 v34, v29, v44
	s_waitcnt lgkmcnt(3)
	v_mul_f32_e32 v26, v39, v42
	v_mul_f32_e32 v27, v60, v44
	v_fmac_f32_e32 v10, v39, v41
	v_fmac_f32_e32 v34, v60, v43
	v_fma_f32 v4, v4, v41, -v26
	v_fma_f32 v29, v29, v43, -v27
	s_waitcnt vmcnt(2) lgkmcnt(2)
	v_mul_f32_e32 v26, v54, v46
	s_waitcnt lgkmcnt(1)
	v_mul_f32_e32 v27, v56, v48
	v_add_f32_e32 v28, v10, v34
	v_mul_f32_e32 v39, v25, v46
	v_mul_f32_e32 v61, v23, v48
	v_fma_f32 v65, v25, v45, -v26
	v_fma_f32 v23, v23, v47, -v27
	v_fma_f32 v42, -0.5, v28, v36
	global_load_dwordx4 v[25:28], v[2:3], off offset:3120
	v_add_f32_e32 v41, v4, v29
	v_fmac_f32_e32 v39, v45, v54
	v_fmac_f32_e32 v61, v47, v56
	v_fma_f32 v41, -0.5, v41, v6
	v_add_f32_e32 v3, v39, v61
	v_sub_f32_e32 v60, v10, v34
	v_mov_b32_e32 v45, v41
	s_waitcnt lgkmcnt(0)
	v_fma_f32 v48, -0.5, v3, v58
	v_sub_f32_e32 v2, v65, v23
	v_fmac_f32_e32 v41, 0xbf5db3d7, v60
	v_fmac_f32_e32 v45, 0x3f5db3d7, v60
	v_mov_b32_e32 v60, v48
	v_fmac_f32_e32 v48, 0xbf5db3d7, v2
	v_fmac_f32_e32 v60, 0x3f5db3d7, v2
	v_add_f32_e32 v2, v39, v58
	v_add_f32_e32 v62, v61, v2
	global_load_dwordx4 v[0:3], v[0:1], off offset:3120
	v_sub_f32_e32 v59, v4, v29
	v_add_f32_e32 v4, v6, v4
	v_add_f32_e32 v43, v4, v29
	;; [unrolled: 1-line block ×3, first 2 shown]
	v_fma_f32 v47, -0.5, v4, v21
	v_add_f32_e32 v4, v21, v65
	v_sub_f32_e32 v6, v39, v61
	v_add_f32_e32 v61, v4, v23
	s_waitcnt vmcnt(3)
	v_mul_f32_e32 v4, v53, v31
	v_mul_f32_e32 v29, v24, v31
	v_mov_b32_e32 v46, v42
	v_fma_f32 v4, v24, v30, -v4
	v_fmac_f32_e32 v29, v30, v53
	v_mul_f32_e32 v30, v22, v33
	v_fmac_f32_e32 v42, 0x3f5db3d7, v59
	v_fmac_f32_e32 v46, 0xbf5db3d7, v59
	v_mov_b32_e32 v59, v47
	v_fmac_f32_e32 v30, v32, v55
	v_fmac_f32_e32 v47, 0x3f5db3d7, v6
	;; [unrolled: 1-line block ×3, first 2 shown]
	v_mul_f32_e32 v6, v55, v33
	v_add_f32_e32 v21, v29, v30
	v_add_f32_e32 v10, v36, v10
	v_fma_f32 v6, v22, v32, -v6
	v_fma_f32 v22, -0.5, v21, v57
	v_add_f32_e32 v44, v10, v34
	v_sub_f32_e32 v10, v4, v6
	v_mov_b32_e32 v24, v22
	v_add_f32_e32 v21, v4, v6
	v_fmac_f32_e32 v24, 0x3f5db3d7, v10
	v_fma_f32 v21, -0.5, v21, v20
	v_fmac_f32_e32 v22, 0xbf5db3d7, v10
	v_add_f32_e32 v10, v29, v57
	v_sub_f32_e32 v31, v29, v30
	v_mov_b32_e32 v23, v21
	v_add_f32_e32 v30, v30, v10
	v_add_u32_e32 v10, 0x600, v38
	v_fmac_f32_e32 v23, 0xbf5db3d7, v31
	v_fmac_f32_e32 v21, 0x3f5db3d7, v31
	ds_read2_b32 v[31:32], v10 offset0:78 offset1:144
	v_add_u32_e32 v10, 0xc00, v38
	ds_read2_b32 v[33:34], v10 offset0:90 offset1:156
	v_add_f32_e32 v4, v20, v4
	ds_read2_b32 v[38:39], v38 offset0:66 offset1:132
	v_add_f32_e32 v29, v4, v6
	s_waitcnt vmcnt(2)
	v_mul_f32_e32 v36, v19, v50
	s_waitcnt lgkmcnt(1)
	v_mul_f32_e32 v6, v34, v52
	v_fma_f32 v6, v17, v51, -v6
	v_mul_f32_e32 v17, v17, v52
	v_mul_f32_e32 v4, v32, v50
	v_fmac_f32_e32 v36, v49, v32
	v_fmac_f32_e32 v17, v51, v34
	v_fma_f32 v4, v19, v49, -v4
	v_add_f32_e32 v19, v36, v17
	v_sub_f32_e32 v10, v4, v6
	s_waitcnt lgkmcnt(0)
	v_fma_f32 v20, -0.5, v19, v39
	v_add_f32_e32 v19, v4, v6
	v_add_f32_e32 v4, v15, v4
	;; [unrolled: 1-line block ×3, first 2 shown]
	v_fma_f32 v19, -0.5, v19, v15
	v_mov_b32_e32 v50, v20
	v_fmac_f32_e32 v50, 0x3f5db3d7, v10
	s_waitcnt vmcnt(1)
	v_mul_f32_e32 v4, v31, v26
	v_mul_f32_e32 v26, v18, v26
	v_fma_f32 v4, v18, v25, -v4
	v_fmac_f32_e32 v26, v25, v31
	v_mul_f32_e32 v25, v16, v28
	v_fmac_f32_e32 v25, v27, v33
	v_mul_f32_e32 v6, v33, v28
	v_add_f32_e32 v15, v26, v25
	v_fma_f32 v6, v16, v27, -v6
	v_fma_f32 v16, -0.5, v15, v38
	v_fmac_f32_e32 v20, 0xbf5db3d7, v10
	v_sub_f32_e32 v10, v4, v6
	v_mov_b32_e32 v18, v16
	v_fmac_f32_e32 v18, 0x3f5db3d7, v10
	v_add_f32_e32 v15, v4, v6
	v_fmac_f32_e32 v16, 0xbf5db3d7, v10
	v_add_f32_e32 v10, v26, v38
	v_add_f32_e32 v4, v14, v4
	v_sub_f32_e32 v27, v26, v25
	v_add_f32_e32 v26, v25, v10
	v_add_f32_e32 v25, v4, v6
	s_waitcnt vmcnt(0)
	v_mul_f32_e32 v4, v37, v1
	v_mul_f32_e32 v6, v40, v3
	v_fma_f32 v4, v7, v0, -v4
	v_fma_f32 v6, v5, v2, -v6
	v_mul_f32_e32 v7, v7, v1
	v_mul_f32_e32 v5, v5, v3
	v_fmac_f32_e32 v7, v0, v37
	v_fmac_f32_e32 v5, v2, v40
	v_add_f32_e32 v0, v7, v5
	v_fma_f32 v1, -0.5, v0, v63
	v_sub_f32_e32 v10, v4, v6
	v_mov_b32_e32 v3, v1
	v_fmac_f32_e32 v3, 0x3f5db3d7, v10
	v_fmac_f32_e32 v1, 0xbf5db3d7, v10
	v_mul_hi_u32 v10, v64, s0
	v_add_f32_e32 v0, v4, v6
	v_add_f32_e32 v4, v35, v4
	v_add_f32_e32 v4, v4, v6
	v_lshrrev_b32_e32 v6, 8, v10
	v_fma_f32 v15, -0.5, v15, v14
	v_sub_f32_e32 v14, v7, v5
	v_add_f32_e32 v7, v7, v63
	v_mul_u32_u24_e32 v6, 0x18c, v6
	v_add_f32_e32 v5, v5, v7
	v_sub_u32_e32 v10, v64, v6
	v_lshlrev_b64 v[6:7], 3, v[12:13]
	v_mov_b32_e32 v12, s11
	v_add_co_u32_e32 v13, vcc, s10, v6
	v_addc_co_u32_e32 v12, vcc, v12, v7, vcc
	v_lshlrev_b64 v[6:7], 3, v[8:9]
	v_fma_f32 v0, -0.5, v0, v35
	v_add_co_u32_e32 v8, vcc, v13, v6
	v_addc_co_u32_e32 v9, vcc, v12, v7, vcc
	v_lshlrev_b32_e32 v6, 3, v10
	v_add_co_u32_e32 v6, vcc, v8, v6
	v_addc_co_u32_e32 v7, vcc, 0, v9, vcc
	v_mov_b32_e32 v2, v0
	v_fmac_f32_e32 v0, 0x3f5db3d7, v14
	global_store_dwordx2 v[6:7], v[4:5], off
	global_store_dwordx2 v[6:7], v[0:1], off offset:3168
	v_add_u32_e32 v4, 0x42, v64
	v_mul_hi_u32 v5, v4, s0
	v_add_co_u32_e32 v0, vcc, s4, v6
	v_fmac_f32_e32 v2, 0xbf5db3d7, v14
	v_addc_co_u32_e32 v1, vcc, 0, v7, vcc
	global_store_dwordx2 v[0:1], v[2:3], off offset:2240
	v_lshrrev_b32_e32 v0, 8, v5
	v_mul_u32_u24_e32 v1, 0x18c, v0
	v_sub_u32_e32 v1, v4, v1
	v_mad_u32_u24 v10, v0, s1, v1
	v_lshlrev_b64 v[0:1], 3, v[10:11]
	v_add_f32_e32 v34, v36, v39
	v_add_co_u32_e32 v0, vcc, v8, v0
	v_addc_co_u32_e32 v1, vcc, v9, v1, vcc
	global_store_dwordx2 v[0:1], v[25:26], off
	v_add_u32_e32 v0, 0x18c, v10
	v_mov_b32_e32 v1, v11
	v_lshlrev_b64 v[0:1], 3, v[0:1]
	v_sub_f32_e32 v32, v36, v17
	v_add_co_u32_e32 v0, vcc, v8, v0
	v_add_f32_e32 v52, v17, v34
	v_mov_b32_e32 v17, v15
	v_fmac_f32_e32 v15, 0x3f5db3d7, v27
	v_addc_co_u32_e32 v1, vcc, v9, v1, vcc
	v_add_u32_e32 v10, 0x318, v10
	v_add_u32_e32 v2, 0x84, v64
	global_store_dwordx2 v[0:1], v[15:16], off
	v_lshlrev_b64 v[0:1], 3, v[10:11]
	v_mul_hi_u32 v3, v2, s0
	v_add_co_u32_e32 v0, vcc, v8, v0
	v_fmac_f32_e32 v17, 0xbf5db3d7, v27
	v_addc_co_u32_e32 v1, vcc, v9, v1, vcc
	global_store_dwordx2 v[0:1], v[17:18], off
	v_lshrrev_b32_e32 v0, 8, v3
	v_mul_u32_u24_e32 v1, 0x18c, v0
	v_sub_u32_e32 v1, v2, v1
	v_mad_u32_u24 v10, v0, s1, v1
	v_lshlrev_b64 v[0:1], 3, v[10:11]
	v_mov_b32_e32 v49, v19
	v_add_co_u32_e32 v0, vcc, v8, v0
	v_addc_co_u32_e32 v1, vcc, v9, v1, vcc
	global_store_dwordx2 v[0:1], v[51:52], off
	v_add_u32_e32 v0, 0x18c, v10
	v_mov_b32_e32 v1, v11
	v_lshlrev_b64 v[0:1], 3, v[0:1]
	v_fmac_f32_e32 v19, 0x3f5db3d7, v32
	v_add_co_u32_e32 v0, vcc, v8, v0
	v_addc_co_u32_e32 v1, vcc, v9, v1, vcc
	v_add_u32_e32 v10, 0x318, v10
	v_add_u32_e32 v2, 0xc6, v64
	global_store_dwordx2 v[0:1], v[19:20], off
	v_lshlrev_b64 v[0:1], 3, v[10:11]
	v_mul_hi_u32 v3, v2, s0
	v_add_co_u32_e32 v0, vcc, v8, v0
	v_fmac_f32_e32 v49, 0xbf5db3d7, v32
	v_addc_co_u32_e32 v1, vcc, v9, v1, vcc
	global_store_dwordx2 v[0:1], v[49:50], off
	v_lshrrev_b32_e32 v0, 8, v3
	v_mul_u32_u24_e32 v1, 0x18c, v0
	v_sub_u32_e32 v1, v2, v1
	v_mad_u32_u24 v10, v0, s1, v1
	v_lshlrev_b64 v[0:1], 3, v[10:11]
	v_add_u32_e32 v2, 0x108, v64
	v_add_co_u32_e32 v0, vcc, v8, v0
	v_addc_co_u32_e32 v1, vcc, v9, v1, vcc
	global_store_dwordx2 v[0:1], v[29:30], off
	v_add_u32_e32 v0, 0x18c, v10
	v_mov_b32_e32 v1, v11
	v_lshlrev_b64 v[0:1], 3, v[0:1]
	v_add_u32_e32 v10, 0x318, v10
	v_add_co_u32_e32 v0, vcc, v8, v0
	v_addc_co_u32_e32 v1, vcc, v9, v1, vcc
	global_store_dwordx2 v[0:1], v[21:22], off
	v_lshlrev_b64 v[0:1], 3, v[10:11]
	v_mul_hi_u32 v3, v2, s0
	v_add_co_u32_e32 v0, vcc, v8, v0
	v_addc_co_u32_e32 v1, vcc, v9, v1, vcc
	global_store_dwordx2 v[0:1], v[23:24], off
	v_lshrrev_b32_e32 v0, 8, v3
	v_mul_u32_u24_e32 v1, 0x18c, v0
	v_sub_u32_e32 v1, v2, v1
	v_mad_u32_u24 v10, v0, s1, v1
	v_lshlrev_b64 v[0:1], 3, v[10:11]
	v_add_u32_e32 v2, 0x14a, v64
	v_add_co_u32_e32 v0, vcc, v8, v0
	v_addc_co_u32_e32 v1, vcc, v9, v1, vcc
	global_store_dwordx2 v[0:1], v[61:62], off
	v_add_u32_e32 v0, 0x18c, v10
	v_mov_b32_e32 v1, v11
	v_lshlrev_b64 v[0:1], 3, v[0:1]
	v_add_u32_e32 v10, 0x318, v10
	v_add_co_u32_e32 v0, vcc, v8, v0
	v_addc_co_u32_e32 v1, vcc, v9, v1, vcc
	global_store_dwordx2 v[0:1], v[47:48], off
	v_lshlrev_b64 v[0:1], 3, v[10:11]
	v_mul_hi_u32 v3, v2, s0
	v_add_co_u32_e32 v0, vcc, v8, v0
	v_addc_co_u32_e32 v1, vcc, v9, v1, vcc
	global_store_dwordx2 v[0:1], v[59:60], off
	v_lshrrev_b32_e32 v0, 8, v3
	v_mul_u32_u24_e32 v1, 0x18c, v0
	v_sub_u32_e32 v1, v2, v1
	v_mad_u32_u24 v10, v0, s1, v1
	v_lshlrev_b64 v[0:1], 3, v[10:11]
	v_add_co_u32_e32 v0, vcc, v8, v0
	v_addc_co_u32_e32 v1, vcc, v9, v1, vcc
	global_store_dwordx2 v[0:1], v[43:44], off
	v_add_u32_e32 v0, 0x18c, v10
	v_mov_b32_e32 v1, v11
	v_lshlrev_b64 v[0:1], 3, v[0:1]
	v_add_u32_e32 v10, 0x318, v10
	v_add_co_u32_e32 v0, vcc, v8, v0
	v_addc_co_u32_e32 v1, vcc, v9, v1, vcc
	global_store_dwordx2 v[0:1], v[45:46], off
	v_lshlrev_b64 v[0:1], 3, v[10:11]
	v_add_co_u32_e32 v0, vcc, v8, v0
	v_addc_co_u32_e32 v1, vcc, v9, v1, vcc
	global_store_dwordx2 v[0:1], v[41:42], off
.LBB0_22:
	s_endpgm
	.section	.rodata,"a",@progbits
	.p2align	6, 0x0
	.amdhsa_kernel fft_rtc_fwd_len1188_factors_6_11_2_3_3_wgs_198_tpt_66_halfLds_sp_op_CI_CI_unitstride_sbrr_dirReg
		.amdhsa_group_segment_fixed_size 0
		.amdhsa_private_segment_fixed_size 0
		.amdhsa_kernarg_size 104
		.amdhsa_user_sgpr_count 6
		.amdhsa_user_sgpr_private_segment_buffer 1
		.amdhsa_user_sgpr_dispatch_ptr 0
		.amdhsa_user_sgpr_queue_ptr 0
		.amdhsa_user_sgpr_kernarg_segment_ptr 1
		.amdhsa_user_sgpr_dispatch_id 0
		.amdhsa_user_sgpr_flat_scratch_init 0
		.amdhsa_user_sgpr_private_segment_size 0
		.amdhsa_uses_dynamic_stack 0
		.amdhsa_system_sgpr_private_segment_wavefront_offset 0
		.amdhsa_system_sgpr_workgroup_id_x 1
		.amdhsa_system_sgpr_workgroup_id_y 0
		.amdhsa_system_sgpr_workgroup_id_z 0
		.amdhsa_system_sgpr_workgroup_info 0
		.amdhsa_system_vgpr_workitem_id 0
		.amdhsa_next_free_vgpr 87
		.amdhsa_next_free_sgpr 28
		.amdhsa_reserve_vcc 1
		.amdhsa_reserve_flat_scratch 0
		.amdhsa_float_round_mode_32 0
		.amdhsa_float_round_mode_16_64 0
		.amdhsa_float_denorm_mode_32 3
		.amdhsa_float_denorm_mode_16_64 3
		.amdhsa_dx10_clamp 1
		.amdhsa_ieee_mode 1
		.amdhsa_fp16_overflow 0
		.amdhsa_exception_fp_ieee_invalid_op 0
		.amdhsa_exception_fp_denorm_src 0
		.amdhsa_exception_fp_ieee_div_zero 0
		.amdhsa_exception_fp_ieee_overflow 0
		.amdhsa_exception_fp_ieee_underflow 0
		.amdhsa_exception_fp_ieee_inexact 0
		.amdhsa_exception_int_div_zero 0
	.end_amdhsa_kernel
	.text
.Lfunc_end0:
	.size	fft_rtc_fwd_len1188_factors_6_11_2_3_3_wgs_198_tpt_66_halfLds_sp_op_CI_CI_unitstride_sbrr_dirReg, .Lfunc_end0-fft_rtc_fwd_len1188_factors_6_11_2_3_3_wgs_198_tpt_66_halfLds_sp_op_CI_CI_unitstride_sbrr_dirReg
                                        ; -- End function
	.section	.AMDGPU.csdata,"",@progbits
; Kernel info:
; codeLenInByte = 12228
; NumSgprs: 32
; NumVgprs: 87
; ScratchSize: 0
; MemoryBound: 0
; FloatMode: 240
; IeeeMode: 1
; LDSByteSize: 0 bytes/workgroup (compile time only)
; SGPRBlocks: 3
; VGPRBlocks: 21
; NumSGPRsForWavesPerEU: 32
; NumVGPRsForWavesPerEU: 87
; Occupancy: 2
; WaveLimiterHint : 1
; COMPUTE_PGM_RSRC2:SCRATCH_EN: 0
; COMPUTE_PGM_RSRC2:USER_SGPR: 6
; COMPUTE_PGM_RSRC2:TRAP_HANDLER: 0
; COMPUTE_PGM_RSRC2:TGID_X_EN: 1
; COMPUTE_PGM_RSRC2:TGID_Y_EN: 0
; COMPUTE_PGM_RSRC2:TGID_Z_EN: 0
; COMPUTE_PGM_RSRC2:TIDIG_COMP_CNT: 0
	.type	__hip_cuid_a5180ab036fb42e4,@object ; @__hip_cuid_a5180ab036fb42e4
	.section	.bss,"aw",@nobits
	.globl	__hip_cuid_a5180ab036fb42e4
__hip_cuid_a5180ab036fb42e4:
	.byte	0                               ; 0x0
	.size	__hip_cuid_a5180ab036fb42e4, 1

	.ident	"AMD clang version 19.0.0git (https://github.com/RadeonOpenCompute/llvm-project roc-6.4.0 25133 c7fe45cf4b819c5991fe208aaa96edf142730f1d)"
	.section	".note.GNU-stack","",@progbits
	.addrsig
	.addrsig_sym __hip_cuid_a5180ab036fb42e4
	.amdgpu_metadata
---
amdhsa.kernels:
  - .args:
      - .actual_access:  read_only
        .address_space:  global
        .offset:         0
        .size:           8
        .value_kind:     global_buffer
      - .offset:         8
        .size:           8
        .value_kind:     by_value
      - .actual_access:  read_only
        .address_space:  global
        .offset:         16
        .size:           8
        .value_kind:     global_buffer
      - .actual_access:  read_only
        .address_space:  global
        .offset:         24
        .size:           8
        .value_kind:     global_buffer
      - .actual_access:  read_only
        .address_space:  global
        .offset:         32
        .size:           8
        .value_kind:     global_buffer
      - .offset:         40
        .size:           8
        .value_kind:     by_value
      - .actual_access:  read_only
        .address_space:  global
        .offset:         48
        .size:           8
        .value_kind:     global_buffer
      - .actual_access:  read_only
        .address_space:  global
        .offset:         56
        .size:           8
        .value_kind:     global_buffer
      - .offset:         64
        .size:           4
        .value_kind:     by_value
      - .actual_access:  read_only
        .address_space:  global
        .offset:         72
        .size:           8
        .value_kind:     global_buffer
      - .actual_access:  read_only
        .address_space:  global
        .offset:         80
        .size:           8
        .value_kind:     global_buffer
      - .actual_access:  read_only
        .address_space:  global
        .offset:         88
        .size:           8
        .value_kind:     global_buffer
      - .actual_access:  write_only
        .address_space:  global
        .offset:         96
        .size:           8
        .value_kind:     global_buffer
    .group_segment_fixed_size: 0
    .kernarg_segment_align: 8
    .kernarg_segment_size: 104
    .language:       OpenCL C
    .language_version:
      - 2
      - 0
    .max_flat_workgroup_size: 198
    .name:           fft_rtc_fwd_len1188_factors_6_11_2_3_3_wgs_198_tpt_66_halfLds_sp_op_CI_CI_unitstride_sbrr_dirReg
    .private_segment_fixed_size: 0
    .sgpr_count:     32
    .sgpr_spill_count: 0
    .symbol:         fft_rtc_fwd_len1188_factors_6_11_2_3_3_wgs_198_tpt_66_halfLds_sp_op_CI_CI_unitstride_sbrr_dirReg.kd
    .uniform_work_group_size: 1
    .uses_dynamic_stack: false
    .vgpr_count:     87
    .vgpr_spill_count: 0
    .wavefront_size: 64
amdhsa.target:   amdgcn-amd-amdhsa--gfx906
amdhsa.version:
  - 1
  - 2
...

	.end_amdgpu_metadata
